;; amdgpu-corpus repo=ROCm/rocFFT kind=compiled arch=gfx1030 opt=O3
	.text
	.amdgcn_target "amdgcn-amd-amdhsa--gfx1030"
	.amdhsa_code_object_version 6
	.protected	fft_rtc_fwd_len3750_factors_3_5_5_10_5_wgs_125_tpt_125_halfLds_half_op_CI_CI_sbrr_dirReg ; -- Begin function fft_rtc_fwd_len3750_factors_3_5_5_10_5_wgs_125_tpt_125_halfLds_half_op_CI_CI_sbrr_dirReg
	.globl	fft_rtc_fwd_len3750_factors_3_5_5_10_5_wgs_125_tpt_125_halfLds_half_op_CI_CI_sbrr_dirReg
	.p2align	8
	.type	fft_rtc_fwd_len3750_factors_3_5_5_10_5_wgs_125_tpt_125_halfLds_half_op_CI_CI_sbrr_dirReg,@function
fft_rtc_fwd_len3750_factors_3_5_5_10_5_wgs_125_tpt_125_halfLds_half_op_CI_CI_sbrr_dirReg: ; @fft_rtc_fwd_len3750_factors_3_5_5_10_5_wgs_125_tpt_125_halfLds_half_op_CI_CI_sbrr_dirReg
; %bb.0:
	s_clause 0x2
	s_load_dwordx4 s[16:19], s[4:5], 0x18
	s_load_dwordx4 s[12:15], s[4:5], 0x0
	;; [unrolled: 1-line block ×3, first 2 shown]
	v_mul_u32_u24_e32 v1, 0x20d, v0
	v_mov_b32_e32 v3, 0
	s_waitcnt lgkmcnt(0)
	s_load_dwordx2 s[20:21], s[16:17], 0x0
	s_load_dwordx2 s[2:3], s[18:19], 0x0
	v_cmp_lt_u64_e64 s0, s[14:15], 2
	v_add_nc_u32_sdwa v5, s6, v1 dst_sel:DWORD dst_unused:UNUSED_PAD src0_sel:DWORD src1_sel:WORD_1
	v_mov_b32_e32 v1, 0
	v_mov_b32_e32 v6, v3
	;; [unrolled: 1-line block ×3, first 2 shown]
	s_and_b32 vcc_lo, exec_lo, s0
	s_cbranch_vccnz .LBB0_8
; %bb.1:
	s_load_dwordx2 s[0:1], s[4:5], 0x10
	v_mov_b32_e32 v1, 0
	v_mov_b32_e32 v2, 0
	s_add_u32 s6, s18, 8
	s_addc_u32 s7, s19, 0
	s_add_u32 s22, s16, 8
	s_addc_u32 s23, s17, 0
	v_mov_b32_e32 v25, v2
	v_mov_b32_e32 v24, v1
	s_mov_b64 s[26:27], 1
	s_waitcnt lgkmcnt(0)
	s_add_u32 s24, s0, 8
	s_addc_u32 s25, s1, 0
.LBB0_2:                                ; =>This Inner Loop Header: Depth=1
	s_load_dwordx2 s[28:29], s[24:25], 0x0
                                        ; implicit-def: $vgpr26_vgpr27
	s_mov_b32 s0, exec_lo
	s_waitcnt lgkmcnt(0)
	v_or_b32_e32 v4, s29, v6
	v_cmpx_ne_u64_e32 0, v[3:4]
	s_xor_b32 s1, exec_lo, s0
	s_cbranch_execz .LBB0_4
; %bb.3:                                ;   in Loop: Header=BB0_2 Depth=1
	v_cvt_f32_u32_e32 v4, s28
	v_cvt_f32_u32_e32 v7, s29
	s_sub_u32 s0, 0, s28
	s_subb_u32 s30, 0, s29
	v_fmac_f32_e32 v4, 0x4f800000, v7
	v_rcp_f32_e32 v4, v4
	v_mul_f32_e32 v4, 0x5f7ffffc, v4
	v_mul_f32_e32 v7, 0x2f800000, v4
	v_trunc_f32_e32 v7, v7
	v_fmac_f32_e32 v4, 0xcf800000, v7
	v_cvt_u32_f32_e32 v7, v7
	v_cvt_u32_f32_e32 v4, v4
	v_mul_lo_u32 v8, s0, v7
	v_mul_hi_u32 v9, s0, v4
	v_mul_lo_u32 v10, s30, v4
	v_add_nc_u32_e32 v8, v9, v8
	v_mul_lo_u32 v9, s0, v4
	v_add_nc_u32_e32 v8, v8, v10
	v_mul_hi_u32 v10, v4, v9
	v_mul_lo_u32 v11, v4, v8
	v_mul_hi_u32 v12, v4, v8
	v_mul_hi_u32 v13, v7, v9
	v_mul_lo_u32 v9, v7, v9
	v_mul_hi_u32 v14, v7, v8
	v_mul_lo_u32 v8, v7, v8
	v_add_co_u32 v10, vcc_lo, v10, v11
	v_add_co_ci_u32_e32 v11, vcc_lo, 0, v12, vcc_lo
	v_add_co_u32 v9, vcc_lo, v10, v9
	v_add_co_ci_u32_e32 v9, vcc_lo, v11, v13, vcc_lo
	v_add_co_ci_u32_e32 v10, vcc_lo, 0, v14, vcc_lo
	v_add_co_u32 v8, vcc_lo, v9, v8
	v_add_co_ci_u32_e32 v9, vcc_lo, 0, v10, vcc_lo
	v_add_co_u32 v4, vcc_lo, v4, v8
	v_add_co_ci_u32_e32 v7, vcc_lo, v7, v9, vcc_lo
	v_mul_hi_u32 v8, s0, v4
	v_mul_lo_u32 v10, s30, v4
	v_mul_lo_u32 v9, s0, v7
	v_add_nc_u32_e32 v8, v8, v9
	v_mul_lo_u32 v9, s0, v4
	v_add_nc_u32_e32 v8, v8, v10
	v_mul_hi_u32 v10, v4, v9
	v_mul_lo_u32 v11, v4, v8
	v_mul_hi_u32 v12, v4, v8
	v_mul_hi_u32 v13, v7, v9
	v_mul_lo_u32 v9, v7, v9
	v_mul_hi_u32 v14, v7, v8
	v_mul_lo_u32 v8, v7, v8
	v_add_co_u32 v10, vcc_lo, v10, v11
	v_add_co_ci_u32_e32 v11, vcc_lo, 0, v12, vcc_lo
	v_add_co_u32 v9, vcc_lo, v10, v9
	v_add_co_ci_u32_e32 v9, vcc_lo, v11, v13, vcc_lo
	v_add_co_ci_u32_e32 v10, vcc_lo, 0, v14, vcc_lo
	v_add_co_u32 v8, vcc_lo, v9, v8
	v_add_co_ci_u32_e32 v9, vcc_lo, 0, v10, vcc_lo
	v_add_co_u32 v4, vcc_lo, v4, v8
	v_add_co_ci_u32_e32 v11, vcc_lo, v7, v9, vcc_lo
	v_mul_hi_u32 v13, v5, v4
	v_mad_u64_u32 v[9:10], null, v6, v4, 0
	v_mad_u64_u32 v[7:8], null, v5, v11, 0
	v_mad_u64_u32 v[11:12], null, v6, v11, 0
	v_add_co_u32 v4, vcc_lo, v13, v7
	v_add_co_ci_u32_e32 v7, vcc_lo, 0, v8, vcc_lo
	v_add_co_u32 v4, vcc_lo, v4, v9
	v_add_co_ci_u32_e32 v4, vcc_lo, v7, v10, vcc_lo
	v_add_co_ci_u32_e32 v7, vcc_lo, 0, v12, vcc_lo
	v_add_co_u32 v4, vcc_lo, v4, v11
	v_add_co_ci_u32_e32 v9, vcc_lo, 0, v7, vcc_lo
	v_mul_lo_u32 v10, s29, v4
	v_mad_u64_u32 v[7:8], null, s28, v4, 0
	v_mul_lo_u32 v11, s28, v9
	v_sub_co_u32 v7, vcc_lo, v5, v7
	v_add3_u32 v8, v8, v11, v10
	v_sub_nc_u32_e32 v10, v6, v8
	v_subrev_co_ci_u32_e64 v10, s0, s29, v10, vcc_lo
	v_add_co_u32 v11, s0, v4, 2
	v_add_co_ci_u32_e64 v12, s0, 0, v9, s0
	v_sub_co_u32 v13, s0, v7, s28
	v_sub_co_ci_u32_e32 v8, vcc_lo, v6, v8, vcc_lo
	v_subrev_co_ci_u32_e64 v10, s0, 0, v10, s0
	v_cmp_le_u32_e32 vcc_lo, s28, v13
	v_cmp_eq_u32_e64 s0, s29, v8
	v_cndmask_b32_e64 v13, 0, -1, vcc_lo
	v_cmp_le_u32_e32 vcc_lo, s29, v10
	v_cndmask_b32_e64 v14, 0, -1, vcc_lo
	v_cmp_le_u32_e32 vcc_lo, s28, v7
	;; [unrolled: 2-line block ×3, first 2 shown]
	v_cndmask_b32_e64 v15, 0, -1, vcc_lo
	v_cmp_eq_u32_e32 vcc_lo, s29, v10
	v_cndmask_b32_e64 v7, v15, v7, s0
	v_cndmask_b32_e32 v10, v14, v13, vcc_lo
	v_add_co_u32 v13, vcc_lo, v4, 1
	v_add_co_ci_u32_e32 v14, vcc_lo, 0, v9, vcc_lo
	v_cmp_ne_u32_e32 vcc_lo, 0, v10
	v_cndmask_b32_e32 v8, v14, v12, vcc_lo
	v_cndmask_b32_e32 v10, v13, v11, vcc_lo
	v_cmp_ne_u32_e32 vcc_lo, 0, v7
	v_cndmask_b32_e32 v27, v9, v8, vcc_lo
	v_cndmask_b32_e32 v26, v4, v10, vcc_lo
.LBB0_4:                                ;   in Loop: Header=BB0_2 Depth=1
	s_andn2_saveexec_b32 s0, s1
	s_cbranch_execz .LBB0_6
; %bb.5:                                ;   in Loop: Header=BB0_2 Depth=1
	v_cvt_f32_u32_e32 v4, s28
	s_sub_i32 s1, 0, s28
	v_mov_b32_e32 v27, v3
	v_rcp_iflag_f32_e32 v4, v4
	v_mul_f32_e32 v4, 0x4f7ffffe, v4
	v_cvt_u32_f32_e32 v4, v4
	v_mul_lo_u32 v7, s1, v4
	v_mul_hi_u32 v7, v4, v7
	v_add_nc_u32_e32 v4, v4, v7
	v_mul_hi_u32 v4, v5, v4
	v_mul_lo_u32 v7, v4, s28
	v_add_nc_u32_e32 v8, 1, v4
	v_sub_nc_u32_e32 v7, v5, v7
	v_subrev_nc_u32_e32 v9, s28, v7
	v_cmp_le_u32_e32 vcc_lo, s28, v7
	v_cndmask_b32_e32 v7, v7, v9, vcc_lo
	v_cndmask_b32_e32 v4, v4, v8, vcc_lo
	v_cmp_le_u32_e32 vcc_lo, s28, v7
	v_add_nc_u32_e32 v8, 1, v4
	v_cndmask_b32_e32 v26, v4, v8, vcc_lo
.LBB0_6:                                ;   in Loop: Header=BB0_2 Depth=1
	s_or_b32 exec_lo, exec_lo, s0
	v_mul_lo_u32 v4, v27, s28
	v_mul_lo_u32 v9, v26, s29
	s_load_dwordx2 s[0:1], s[22:23], 0x0
	v_mad_u64_u32 v[7:8], null, v26, s28, 0
	s_load_dwordx2 s[28:29], s[6:7], 0x0
	s_add_u32 s26, s26, 1
	s_addc_u32 s27, s27, 0
	s_add_u32 s6, s6, 8
	s_addc_u32 s7, s7, 0
	s_add_u32 s22, s22, 8
	v_add3_u32 v4, v8, v9, v4
	v_sub_co_u32 v5, vcc_lo, v5, v7
	s_addc_u32 s23, s23, 0
	s_add_u32 s24, s24, 8
	v_sub_co_ci_u32_e32 v4, vcc_lo, v6, v4, vcc_lo
	s_addc_u32 s25, s25, 0
	s_waitcnt lgkmcnt(0)
	v_mul_lo_u32 v6, s0, v4
	v_mul_lo_u32 v7, s1, v5
	v_mad_u64_u32 v[1:2], null, s0, v5, v[1:2]
	v_mul_lo_u32 v4, s28, v4
	v_mul_lo_u32 v8, s29, v5
	v_mad_u64_u32 v[24:25], null, s28, v5, v[24:25]
	v_cmp_ge_u64_e64 s0, s[26:27], s[14:15]
	v_add3_u32 v2, v7, v2, v6
	v_add3_u32 v25, v8, v25, v4
	s_and_b32 vcc_lo, exec_lo, s0
	s_cbranch_vccnz .LBB0_9
; %bb.7:                                ;   in Loop: Header=BB0_2 Depth=1
	v_mov_b32_e32 v5, v26
	v_mov_b32_e32 v6, v27
	s_branch .LBB0_2
.LBB0_8:
	v_mov_b32_e32 v25, v2
	v_mov_b32_e32 v27, v6
	;; [unrolled: 1-line block ×4, first 2 shown]
.LBB0_9:
	s_load_dwordx2 s[0:1], s[4:5], 0x28
	v_mul_hi_u32 v75, 0x20c49bb, v0
	s_lshl_b64 s[6:7], s[14:15], 3
                                        ; implicit-def: $vgpr37
                                        ; implicit-def: $vgpr48
                                        ; implicit-def: $vgpr49
                                        ; implicit-def: $vgpr53
                                        ; implicit-def: $vgpr54
                                        ; implicit-def: $vgpr55
                                        ; implicit-def: $vgpr3
                                        ; implicit-def: $vgpr50
	s_add_u32 s4, s18, s6
	s_addc_u32 s5, s19, s7
	s_waitcnt lgkmcnt(0)
	v_cmp_gt_u64_e32 vcc_lo, s[0:1], v[26:27]
	v_cmp_le_u64_e64 s0, s[0:1], v[26:27]
	s_and_saveexec_b32 s1, s0
	s_xor_b32 s0, exec_lo, s1
; %bb.10:
	v_mul_u32_u24_e32 v1, 0x7d, v75
                                        ; implicit-def: $vgpr75
	v_sub_nc_u32_e32 v37, v0, v1
                                        ; implicit-def: $vgpr0
                                        ; implicit-def: $vgpr1_vgpr2
	v_add_nc_u32_e32 v48, 0x7d, v37
	v_add_nc_u32_e32 v49, 0xfa, v37
	;; [unrolled: 1-line block ×7, first 2 shown]
; %bb.11:
	s_or_saveexec_b32 s1, s0
                                        ; implicit-def: $vgpr41
                                        ; implicit-def: $vgpr40
                                        ; implicit-def: $vgpr46
                                        ; implicit-def: $vgpr39
                                        ; implicit-def: $vgpr9
                                        ; implicit-def: $vgpr31
                                        ; implicit-def: $vgpr47
                                        ; implicit-def: $vgpr43
                                        ; implicit-def: $vgpr58
                                        ; implicit-def: $vgpr45
                                        ; implicit-def: $vgpr11
                                        ; implicit-def: $vgpr32
                                        ; implicit-def: $vgpr59
                                        ; implicit-def: $vgpr36
                                        ; implicit-def: $vgpr60
                                        ; implicit-def: $vgpr38
                                        ; implicit-def: $vgpr12
                                        ; implicit-def: $vgpr22
                                        ; implicit-def: $vgpr61
                                        ; implicit-def: $vgpr42
                                        ; implicit-def: $vgpr62
                                        ; implicit-def: $vgpr44
                                        ; implicit-def: $vgpr13
                                        ; implicit-def: $vgpr28
                                        ; implicit-def: $vgpr63
                                        ; implicit-def: $vgpr56
                                        ; implicit-def: $vgpr64
                                        ; implicit-def: $vgpr57
                                        ; implicit-def: $vgpr15
                                        ; implicit-def: $vgpr7
                                        ; implicit-def: $vgpr65
                                        ; implicit-def: $vgpr29
                                        ; implicit-def: $vgpr66
                                        ; implicit-def: $vgpr30
                                        ; implicit-def: $vgpr16
                                        ; implicit-def: $vgpr8
                                        ; implicit-def: $vgpr67
                                        ; implicit-def: $vgpr33
                                        ; implicit-def: $vgpr68
                                        ; implicit-def: $vgpr34
                                        ; implicit-def: $vgpr17
                                        ; implicit-def: $vgpr10
                                        ; implicit-def: $vgpr69
                                        ; implicit-def: $vgpr35
                                        ; implicit-def: $vgpr70
                                        ; implicit-def: $vgpr14
                                        ; implicit-def: $vgpr23
                                        ; implicit-def: $vgpr4
                                        ; implicit-def: $vgpr71
                                        ; implicit-def: $vgpr18
                                        ; implicit-def: $vgpr72
                                        ; implicit-def: $vgpr19
                                        ; implicit-def: $vgpr51
                                        ; implicit-def: $vgpr5
                                        ; implicit-def: $vgpr73
                                        ; implicit-def: $vgpr20
                                        ; implicit-def: $vgpr74
                                        ; implicit-def: $vgpr21
                                        ; implicit-def: $vgpr52
                                        ; implicit-def: $vgpr6
	s_xor_b32 exec_lo, exec_lo, s1
	s_cbranch_execz .LBB0_13
; %bb.12:
	s_add_u32 s6, s16, s6
	s_addc_u32 s7, s17, s7
	v_mul_u32_u24_e32 v3, 0x7d, v75
	s_load_dwordx2 s[6:7], s[6:7], 0x0
	v_sub_nc_u32_e32 v37, v0, v3
	v_lshlrev_b64 v[0:1], 2, v[1:2]
	v_mad_u64_u32 v[3:4], null, s20, v37, 0
	v_add_nc_u32_e32 v14, 0x4e2, v37
	v_add_nc_u32_e32 v17, 0x9c4, v37
	;; [unrolled: 1-line block ×5, first 2 shown]
	v_mad_u64_u32 v[5:6], null, s20, v14, 0
	v_mov_b32_e32 v2, v4
	v_mad_u64_u32 v[7:8], null, s20, v17, 0
	s_waitcnt lgkmcnt(0)
	v_mul_lo_u32 v4, s7, v26
	v_mul_lo_u32 v15, s6, v27
	v_mad_u64_u32 v[9:10], null, s6, v26, 0
	v_mad_u64_u32 v[11:12], null, s21, v37, v[2:3]
	v_mov_b32_e32 v2, v6
	v_mov_b32_e32 v6, v8
	v_mad_u64_u32 v[12:13], null, s20, v48, 0
	v_add3_u32 v10, v10, v15, v4
	v_mad_u64_u32 v[14:15], null, s21, v14, v[2:3]
	v_mov_b32_e32 v4, v11
	v_mad_u64_u32 v[15:16], null, s20, v18, 0
	v_lshlrev_b64 v[8:9], 2, v[9:10]
	v_mad_u64_u32 v[10:11], null, s21, v17, v[6:7]
	v_lshlrev_b64 v[3:4], 2, v[3:4]
	v_mov_b32_e32 v6, v14
	v_mov_b32_e32 v2, v13
	v_add_co_u32 v11, s0, s8, v8
	v_add_co_ci_u32_e64 v9, s0, s9, v9, s0
	v_lshlrev_b64 v[5:6], 2, v[5:6]
	v_add_co_u32 v0, s0, v11, v0
	v_add_co_ci_u32_e64 v1, s0, v9, v1, s0
	v_mov_b32_e32 v8, v10
	v_add_co_u32 v3, s0, v0, v3
	v_add_nc_u32_e32 v14, 0xa41, v37
	v_add_co_ci_u32_e64 v4, s0, v1, v4, s0
	v_mad_u64_u32 v[9:10], null, s21, v48, v[2:3]
	v_add_co_u32 v10, s0, v0, v5
	v_add_co_ci_u32_e64 v11, s0, v1, v6, s0
	v_lshlrev_b64 v[5:6], 2, v[7:8]
	v_mad_u64_u32 v[7:8], null, s20, v14, 0
	v_mov_b32_e32 v2, v16
	v_mov_b32_e32 v13, v9
	v_add_nc_u32_e32 v53, 0x177, v37
	v_add_nc_u32_e32 v36, 0x659, v37
	;; [unrolled: 1-line block ×3, first 2 shown]
	v_mad_u64_u32 v[16:17], null, s21, v18, v[2:3]
	v_mov_b32_e32 v2, v8
	v_add_co_u32 v17, s0, v0, v5
	v_add_co_ci_u32_e64 v18, s0, v1, v6, s0
	v_lshlrev_b64 v[5:6], 2, v[12:13]
	v_mad_u64_u32 v[8:9], null, s21, v14, v[2:3]
	v_mad_u64_u32 v[12:13], null, s20, v49, 0
	v_add_nc_u32_e32 v9, 0x5dc, v37
	v_add_co_u32 v22, s0, v0, v5
	v_add_co_ci_u32_e64 v23, s0, v1, v6, s0
	v_lshlrev_b64 v[5:6], 2, v[15:16]
	v_mad_u64_u32 v[14:15], null, s20, v9, 0
	v_mov_b32_e32 v2, v13
	v_add_nc_u32_e32 v16, 0xabe, v37
	v_mad_u64_u32 v[34:35], null, s20, v36, 0
	v_add_co_u32 v28, s0, v0, v5
	v_mad_u64_u32 v[19:20], null, s21, v49, v[2:3]
	v_mov_b32_e32 v2, v15
	v_add_co_ci_u32_e64 v29, s0, v1, v6, s0
	v_lshlrev_b64 v[5:6], 2, v[7:8]
	v_add_nc_u32_e32 v55, 0x271, v37
	v_mad_u64_u32 v[7:8], null, s21, v9, v[2:3]
	v_mad_u64_u32 v[8:9], null, s20, v16, 0
	v_mov_b32_e32 v13, v19
	v_add_co_u32 v30, s0, v0, v5
	v_add_co_ci_u32_e64 v31, s0, v1, v6, s0
	v_mov_b32_e32 v15, v7
	v_mov_b32_e32 v2, v9
	v_lshlrev_b64 v[5:6], 2, v[12:13]
	v_mad_u64_u32 v[12:13], null, s20, v53, 0
	v_lshlrev_b64 v[14:15], 2, v[14:15]
	v_mad_u64_u32 v[19:20], null, s21, v16, v[2:3]
	v_add_co_u32 v32, s0, v0, v5
	v_add_co_ci_u32_e64 v33, s0, v1, v6, s0
	v_mov_b32_e32 v2, v13
	v_add_co_u32 v13, s0, v0, v14
	v_add_co_ci_u32_e64 v14, s0, v1, v15, s0
	v_mov_b32_e32 v9, v19
	s_clause 0x7
	global_load_dword v6, v[3:4], off
	global_load_dword v21, v[10:11], off
	;; [unrolled: 1-line block ×8, first 2 shown]
	v_add_nc_u32_e32 v17, 0xb3b, v37
	v_mad_u64_u32 v[15:16], null, s21, v53, v[2:3]
	v_lshlrev_b64 v[2:3], 2, v[8:9]
	v_mov_b32_e32 v7, v35
	v_mad_u64_u32 v[8:9], null, s20, v17, 0
	v_mov_b32_e32 v13, v15
	v_add_co_u32 v15, s0, v0, v2
	v_add_co_ci_u32_e64 v16, s0, v1, v3, s0
	v_mad_u64_u32 v[10:11], null, s21, v36, v[7:8]
	v_mov_b32_e32 v7, v9
	v_lshlrev_b64 v[2:3], 2, v[12:13]
	v_mad_u64_u32 v[12:13], null, s21, v17, v[7:8]
	v_mov_b32_e32 v35, v10
	v_mad_u64_u32 v[10:11], null, s20, v54, 0
	v_add_co_u32 v22, s0, v0, v2
	v_add_nc_u32_e32 v17, 0x6d6, v37
	v_add_co_ci_u32_e64 v23, s0, v1, v3, s0
	v_lshlrev_b64 v[2:3], 2, v[34:35]
	v_mov_b32_e32 v7, v11
	v_mov_b32_e32 v9, v12
	v_mad_u64_u32 v[12:13], null, s20, v17, 0
	v_add_nc_u32_e32 v34, 0xbb8, v37
	v_mad_u64_u32 v[28:29], null, s21, v54, v[7:8]
	v_add_co_u32 v29, s0, v0, v2
	v_add_co_ci_u32_e64 v30, s0, v1, v3, s0
	v_lshlrev_b64 v[2:3], 2, v[8:9]
	v_mad_u64_u32 v[8:9], null, s20, v34, 0
	v_mov_b32_e32 v7, v13
	v_mov_b32_e32 v11, v28
	v_add_nc_u32_e32 v28, 0xc35, v37
	v_mad_u64_u32 v[31:32], null, s21, v17, v[7:8]
	v_add_co_u32 v32, s0, v0, v2
	v_add_co_ci_u32_e64 v33, s0, v1, v3, s0
	v_lshlrev_b64 v[2:3], 2, v[10:11]
	v_mad_u64_u32 v[10:11], null, s20, v55, 0
	v_mov_b32_e32 v7, v9
	v_mov_b32_e32 v13, v31
	v_add_nc_u32_e32 v17, 0x753, v37
	v_add_co_u32 v38, s0, v0, v2
	v_mad_u64_u32 v[34:35], null, s21, v34, v[7:8]
	v_mov_b32_e32 v2, v11
	v_add_co_ci_u32_e64 v39, s0, v1, v3, s0
	v_lshlrev_b64 v[11:12], 2, v[12:13]
	v_mad_u64_u32 v[40:41], null, s20, v17, 0
	v_mad_u64_u32 v[2:3], null, s21, v55, v[2:3]
	v_mov_b32_e32 v9, v34
	v_add_co_u32 v42, s0, v0, v11
	v_add_co_ci_u32_e64 v43, s0, v1, v12, s0
	v_mov_b32_e32 v7, v41
	v_mov_b32_e32 v11, v2
	v_lshlrev_b64 v[2:3], 2, v[8:9]
	v_mad_u64_u32 v[12:13], null, s20, v28, 0
	v_lshlrev_b64 v[8:9], 2, v[10:11]
	v_add_co_u32 v44, s0, v0, v2
	v_add_co_ci_u32_e64 v45, s0, v1, v3, s0
	v_mad_u64_u32 v[10:11], null, s21, v17, v[7:8]
	v_mov_b32_e32 v2, v13
	v_add_nc_u32_e32 v3, 0x2ee, v37
	v_add_co_u32 v46, s0, v0, v8
	v_add_co_ci_u32_e64 v47, s0, v1, v9, s0
	v_mov_b32_e32 v41, v10
	v_mad_u64_u32 v[9:10], null, s21, v28, v[2:3]
	s_clause 0x7
	global_load_dword v35, v[15:16], off
	global_load_dword v10, v[22:23], off
	;; [unrolled: 1-line block ×8, first 2 shown]
	v_mad_u64_u32 v[50:51], null, s20, v3, 0
	v_add_nc_u32_e32 v17, 0x7d0, v37
	v_add_nc_u32_e32 v28, 0x36b, v37
	v_lshlrev_b64 v[15:16], 2, v[40:41]
	v_mov_b32_e32 v13, v9
	v_mad_u64_u32 v[31:32], null, s20, v17, 0
	v_mov_b32_e32 v2, v51
	v_lshlrev_b64 v[11:12], 2, v[12:13]
	v_add_nc_u32_e32 v13, 0xcb2, v37
	v_mad_u64_u32 v[38:39], null, s20, v28, 0
	v_mad_u64_u32 v[22:23], null, s21, v3, v[2:3]
	v_mov_b32_e32 v2, v32
	v_add_co_u32 v15, s0, v0, v15
	v_add_co_ci_u32_e64 v16, s0, v1, v16, s0
	v_mad_u64_u32 v[40:41], null, s21, v17, v[2:3]
	v_mov_b32_e32 v51, v22
	v_mad_u64_u32 v[22:23], null, s20, v13, 0
	v_mov_b32_e32 v9, v39
	v_add_co_u32 v11, s0, v0, v11
	v_lshlrev_b64 v[41:42], 2, v[50:51]
	v_mov_b32_e32 v32, v40
	v_add_co_ci_u32_e64 v12, s0, v1, v12, s0
	v_mov_b32_e32 v2, v23
	v_add_nc_u32_e32 v17, 0xd2f, v37
	v_lshlrev_b64 v[31:32], 2, v[31:32]
	v_add_nc_u32_e32 v50, 0x465, v37
	v_mad_u64_u32 v[39:40], null, s21, v13, v[2:3]
	v_add_nc_u32_e32 v13, 0x84d, v37
	v_add_co_u32 v40, s0, v0, v41
	v_add_co_ci_u32_e64 v41, s0, v1, v42, s0
	v_add_co_u32 v31, s0, v0, v31
	v_mov_b32_e32 v23, v39
	v_add_co_ci_u32_e64 v32, s0, v1, v32, s0
	v_mad_u64_u32 v[64:65], null, s20, v50, 0
	v_lshlrev_b64 v[22:23], 2, v[22:23]
	v_add_co_u32 v22, s0, v0, v22
	v_add_co_ci_u32_e64 v23, s0, v1, v23, s0
	s_waitcnt vmcnt(14)
	v_lshrrev_b32_e32 v74, 16, v21
	s_waitcnt vmcnt(13)
	v_lshrrev_b32_e32 v73, 16, v20
	;; [unrolled: 2-line block ×6, first 2 shown]
	s_waitcnt vmcnt(6)
	v_mad_u64_u32 v[43:44], null, s21, v28, v[9:10]
	v_mad_u64_u32 v[44:45], null, s20, v17, 0
	v_add_nc_u32_e32 v28, 0x3e8, v37
	s_waitcnt vmcnt(5)
	v_lshrrev_b32_e32 v68, 16, v34
	s_waitcnt vmcnt(4)
	v_lshrrev_b32_e32 v67, 16, v33
	;; [unrolled: 2-line block ×3, first 2 shown]
	v_mov_b32_e32 v39, v43
	v_mad_u64_u32 v[42:43], null, s20, v13, 0
	v_mov_b32_e32 v9, v45
	v_mad_u64_u32 v[51:52], null, s20, v28, 0
	v_lshlrev_b64 v[38:39], 2, v[38:39]
	v_mov_b32_e32 v2, v43
	v_add_co_u32 v38, s0, v0, v38
	v_mad_u64_u32 v[45:46], null, s21, v13, v[2:3]
	v_mad_u64_u32 v[46:47], null, s21, v17, v[9:10]
	v_mov_b32_e32 v2, v52
	v_add_nc_u32_e32 v9, 0x8ca, v37
	v_add_co_ci_u32_e64 v39, s0, v1, v39, s0
	v_mov_b32_e32 v43, v45
	v_add_nc_u32_e32 v13, 0xdac, v37
	v_mov_b32_e32 v45, v46
	v_mad_u64_u32 v[46:47], null, s21, v28, v[2:3]
	v_lshlrev_b64 v[42:43], 2, v[42:43]
	v_mad_u64_u32 v[58:59], null, s20, v9, 0
	v_lshlrev_b64 v[44:45], 2, v[44:45]
	v_add_co_u32 v60, s0, v0, v42
	v_add_co_ci_u32_e64 v61, s0, v1, v43, s0
	v_add_co_u32 v62, s0, v0, v44
	v_add_co_ci_u32_e64 v63, s0, v1, v45, s0
	v_mov_b32_e32 v52, v46
	v_mad_u64_u32 v[45:46], null, s20, v13, 0
	v_mov_b32_e32 v2, v59
	v_mad_u64_u32 v[43:44], null, s21, v9, v[2:3]
	v_mov_b32_e32 v2, v46
	v_add_nc_u32_e32 v9, 0x947, v37
	s_clause 0x7
	global_load_dword v57, v[15:16], off
	global_load_dword v56, v[11:12], off
	;; [unrolled: 1-line block ×8, first 2 shown]
	v_lshlrev_b64 v[11:12], 2, v[51:52]
	v_lshrrev_b32_e32 v23, 16, v4
	v_mad_u64_u32 v[15:16], null, s21, v13, v[2:3]
	v_mov_b32_e32 v2, v65
	v_add_nc_u32_e32 v13, 0xe29, v37
	v_mad_u64_u32 v[16:17], null, s20, v9, 0
	v_mov_b32_e32 v59, v43
	v_mad_u64_u32 v[31:32], null, s21, v50, v[2:3]
	v_mad_u64_u32 v[39:40], null, s20, v13, 0
	v_mov_b32_e32 v46, v15
	v_mov_b32_e32 v2, v17
	v_lshlrev_b64 v[51:52], 2, v[58:59]
	v_add_co_u32 v11, s0, v0, v11
	v_mov_b32_e32 v65, v31
	v_mad_u64_u32 v[31:32], null, s21, v9, v[2:3]
	v_mov_b32_e32 v2, v40
	v_lshlrev_b64 v[40:41], 2, v[45:46]
	v_add_co_ci_u32_e64 v12, s0, v1, v12, s0
	v_add_co_u32 v51, s0, v0, v51
	v_mad_u64_u32 v[45:46], null, s21, v13, v[2:3]
	v_mov_b32_e32 v17, v31
	v_add_co_ci_u32_e64 v52, s0, v1, v52, s0
	v_lshlrev_b64 v[46:47], 2, v[64:65]
	v_add_co_u32 v58, s0, v0, v40
	v_mov_b32_e32 v40, v45
	v_lshlrev_b64 v[15:16], 2, v[16:17]
	v_add_co_ci_u32_e64 v59, s0, v1, v41, s0
	v_add_co_u32 v46, s0, v0, v46
	v_lshlrev_b64 v[31:32], 2, v[39:40]
	v_add_co_ci_u32_e64 v47, s0, v1, v47, s0
	v_add_co_u32 v15, s0, v0, v15
	v_add_co_ci_u32_e64 v16, s0, v1, v16, s0
	v_add_co_u32 v0, s0, v0, v31
	v_add_co_ci_u32_e64 v1, s0, v1, v32, s0
	s_clause 0x5
	global_load_dword v32, v[11:12], off
	global_load_dword v45, v[51:52], off
	;; [unrolled: 1-line block ×6, first 2 shown]
	v_lshrrev_b32_e32 v52, 16, v6
	v_lshrrev_b32_e32 v51, 16, v5
	;; [unrolled: 1-line block ×4, first 2 shown]
	s_waitcnt vmcnt(15)
	v_lshrrev_b32_e32 v65, 16, v29
	s_waitcnt vmcnt(14)
	v_lshrrev_b32_e32 v15, 16, v7
	;; [unrolled: 2-line block ×16, first 2 shown]
.LBB0_13:
	s_or_b32 exec_lo, exec_lo, s1
	v_add_f16_e32 v0, v20, v21
	v_add_f16_e32 v75, v73, v74
	v_add_f16_e32 v1, v21, v6
	v_sub_f16_e32 v2, v74, v73
	v_sub_f16_e32 v21, v21, v20
	v_fmac_f16_e32 v6, -0.5, v0
	v_add_f16_e32 v0, v74, v52
	v_fmac_f16_e32 v52, -0.5, v75
	v_add_f16_e32 v1, v20, v1
	v_mad_u32_u24 v103, v37, 6, 0
	v_fmamk_f16 v20, v2, 0x3aee, v6
	v_fmac_f16_e32 v6, 0xbaee, v2
	v_add_f16_e32 v0, v73, v0
	v_add_f16_e32 v2, v18, v19
	v_fmamk_f16 v76, v21, 0xbaee, v52
	v_add_f16_e32 v73, v19, v5
	v_fmac_f16_e32 v52, 0x3aee, v21
	v_add_f16_e32 v21, v71, v72
	v_fmac_f16_e32 v5, -0.5, v2
	v_sub_f16_e32 v2, v72, v71
	v_add_f16_e32 v73, v18, v73
	v_add_f16_e32 v72, v72, v51
	v_fmac_f16_e32 v51, -0.5, v21
	v_sub_f16_e32 v18, v19, v18
	v_add_f16_e32 v21, v35, v14
	v_fmamk_f16 v19, v2, 0x3aee, v5
	v_fmac_f16_e32 v5, 0xbaee, v2
	v_add_f16_e32 v2, v71, v72
	v_fmamk_f16 v82, v18, 0xbaee, v51
	v_fmac_f16_e32 v51, 0x3aee, v18
	v_add_f16_e32 v18, v69, v70
	v_add_f16_e32 v71, v14, v4
	v_fmac_f16_e32 v4, -0.5, v21
	v_sub_f16_e32 v21, v70, v69
	v_add_f16_e32 v70, v70, v23
	v_fmac_f16_e32 v23, -0.5, v18
	v_sub_f16_e32 v14, v14, v35
	v_add_f16_e32 v71, v35, v71
	v_add_f16_e32 v35, v33, v34
	v_fmamk_f16 v18, v21, 0x3aee, v4
	v_fmac_f16_e32 v4, 0xbaee, v21
	v_fmamk_f16 v84, v14, 0xbaee, v23
	v_fmac_f16_e32 v23, 0x3aee, v14
	v_add_f16_e32 v14, v67, v68
	v_add_f16_e32 v21, v69, v70
	;; [unrolled: 1-line block ×3, first 2 shown]
	v_fmac_f16_e32 v10, -0.5, v35
	v_sub_f16_e32 v35, v68, v67
	v_add_f16_e32 v68, v68, v17
	v_fmac_f16_e32 v17, -0.5, v14
	v_sub_f16_e32 v14, v34, v33
	v_add_f16_e32 v34, v29, v30
	v_add_f16_e32 v69, v33, v69
	v_fmamk_f16 v33, v35, 0x3aee, v10
	v_fmac_f16_e32 v10, 0xbaee, v35
	v_fmamk_f16 v91, v14, 0xbaee, v17
	v_fmac_f16_e32 v17, 0x3aee, v14
	v_add_f16_e32 v14, v65, v66
	v_add_f16_e32 v35, v30, v8
	v_fmac_f16_e32 v8, -0.5, v34
	v_sub_f16_e32 v34, v66, v65
	v_add_f16_e32 v66, v66, v16
	v_fmac_f16_e32 v16, -0.5, v14
	v_sub_f16_e32 v14, v30, v29
	v_add_f16_e32 v30, v56, v57
	v_add_f16_e32 v35, v29, v35
	;; [unrolled: 1-line block ×3, first 2 shown]
	v_fmamk_f16 v29, v34, 0x3aee, v8
	v_fmamk_f16 v66, v14, 0xbaee, v16
	v_fmac_f16_e32 v16, 0x3aee, v14
	v_add_f16_e32 v14, v63, v64
	v_fmac_f16_e32 v8, 0xbaee, v34
	v_add_f16_e32 v34, v57, v7
	v_fmac_f16_e32 v7, -0.5, v30
	v_sub_f16_e32 v30, v64, v63
	v_add_f16_e32 v64, v64, v15
	v_fmac_f16_e32 v15, -0.5, v14
	v_sub_f16_e32 v14, v57, v56
	v_add_f16_e32 v34, v56, v34
	v_fmamk_f16 v56, v30, 0x3aee, v7
	v_fmac_f16_e32 v7, 0xbaee, v30
	v_add_f16_e32 v30, v42, v44
	v_fmamk_f16 v92, v14, 0xbaee, v15
	v_fmac_f16_e32 v15, 0x3aee, v14
	v_add_f16_e32 v14, v61, v62
	v_add_f16_e32 v57, v44, v28
	v_fmac_f16_e32 v28, -0.5, v30
	v_sub_f16_e32 v30, v62, v61
	v_add_f16_e32 v62, v62, v13
	v_fmac_f16_e32 v13, -0.5, v14
	v_sub_f16_e32 v14, v44, v42
	v_add_f16_e32 v64, v63, v64
	v_add_f16_e32 v57, v42, v57
	v_fmamk_f16 v63, v30, 0x3aee, v28
	v_fmac_f16_e32 v28, 0xbaee, v30
	v_add_f16_e32 v30, v36, v38
	v_fmamk_f16 v97, v14, 0xbaee, v13
	v_add_f16_e32 v42, v38, v22
	v_fmac_f16_e32 v13, 0x3aee, v14
	v_add_f16_e32 v14, v59, v60
	v_add_f16_e32 v94, v61, v62
	v_fmac_f16_e32 v22, -0.5, v30
	v_sub_f16_e32 v30, v60, v59
	v_add_f16_e32 v61, v36, v42
	v_add_f16_e32 v42, v60, v12
	v_fmac_f16_e32 v12, -0.5, v14
	v_sub_f16_e32 v14, v38, v36
	v_add_f16_e32 v38, v45, v32
	v_fmamk_f16 v36, v30, 0x3aee, v22
	v_fmac_f16_e32 v22, 0xbaee, v30
	v_add_f16_e32 v99, v59, v42
	v_add_f16_e32 v30, v43, v45
	v_fmamk_f16 v100, v14, 0xbaee, v12
	v_fmac_f16_e32 v12, 0x3aee, v14
	v_add_f16_e32 v14, v47, v58
	v_add_f16_e32 v59, v43, v38
	;; [unrolled: 1-line block ×3, first 2 shown]
	v_fmac_f16_e32 v32, -0.5, v30
	v_sub_f16_e32 v30, v58, v47
	v_fmac_f16_e32 v11, -0.5, v14
	v_sub_f16_e32 v14, v45, v43
	v_add_f16_e32 v101, v47, v38
	v_add_f16_e32 v38, v39, v31
	v_fmamk_f16 v45, v30, 0x3aee, v32
	v_fmac_f16_e32 v32, 0xbaee, v30
	v_add_f16_e32 v30, v40, v39
	v_fmamk_f16 v102, v14, 0xbaee, v11
	v_fmac_f16_e32 v11, 0x3aee, v14
	v_add_f16_e32 v14, v41, v46
	v_add_f16_e32 v47, v40, v38
	;; [unrolled: 1-line block ×3, first 2 shown]
	v_fmac_f16_e32 v31, -0.5, v30
	v_sub_f16_e32 v30, v46, v41
	v_fmac_f16_e32 v9, -0.5, v14
	v_sub_f16_e32 v14, v39, v40
	v_add_f16_e32 v104, v41, v38
	v_mad_i32_i24 v39, v48, 6, 0
	v_mad_i32_i24 v41, v49, 6, 0
	;; [unrolled: 1-line block ×5, first 2 shown]
	s_load_dwordx2 s[4:5], s[4:5], 0x0
	ds_write_b16 v103, v1
	ds_write_b16 v103, v20 offset:2
	ds_write_b16 v103, v6 offset:4
	v_mad_i32_i24 v38, v3, 6, 0
	v_mad_i32_i24 v1, v50, 6, 0
	v_fmamk_f16 v40, v30, 0x3aee, v31
	v_fmac_f16_e32 v31, 0xbaee, v30
	ds_write_b16 v39, v73
	ds_write_b16 v39, v19 offset:2
	ds_write_b16 v39, v5 offset:4
	ds_write_b16 v41, v71
	ds_write_b16 v41, v18 offset:2
	ds_write_b16 v41, v4 offset:4
	;; [unrolled: 3-line block ×6, first 2 shown]
	ds_write_b16 v103, v61 offset:5250
	ds_write_b16 v103, v36 offset:5252
	;; [unrolled: 1-line block ×6, first 2 shown]
	ds_write_b16 v1, v47
	ds_write_b16 v1, v40 offset:2
	ds_write_b16 v1, v31 offset:4
	v_lshlrev_b32_e32 v45, 2, v3
	v_lshlrev_b32_e32 v28, 2, v48
	;; [unrolled: 1-line block ×5, first 2 shown]
	v_lshl_add_u32 v40, v37, 1, 0
	v_sub_nc_u32_e32 v30, v38, v45
	v_lshlrev_b32_e32 v35, 2, v55
	v_and_b32_e32 v57, 0xff, v37
	v_sub_nc_u32_e32 v32, v39, v28
	v_sub_nc_u32_e32 v34, v41, v29
	;; [unrolled: 1-line block ×4, first 2 shown]
	v_add_f16_e32 v90, v67, v68
	s_waitcnt lgkmcnt(0)
	s_barrier
	buffer_gl0_inv
	ds_read_u16 v78, v40 offset:5000
	ds_read_u16 v68, v40 offset:5250
	ds_read_u16 v63, v40
	ds_read_u16 v86, v40 offset:1750
	ds_read_u16 v81, v40 offset:2000
	;; [unrolled: 1-line block ×8, first 2 shown]
	v_sub_nc_u32_e32 v47, v44, v35
	ds_read_u16 v93, v30
	ds_read_u16 v62, v32
	;; [unrolled: 1-line block ×6, first 2 shown]
	ds_read_u16 v88, v40 offset:3250
	ds_read_u16 v96, v40 offset:3000
	;; [unrolled: 1-line block ×13, first 2 shown]
	s_waitcnt lgkmcnt(0)
	s_barrier
	buffer_gl0_inv
	ds_write_b16 v103, v0
	ds_write_b16 v103, v76 offset:2
	ds_write_b16 v103, v52 offset:4
	ds_write_b16 v39, v2
	ds_write_b16 v39, v82 offset:2
	ds_write_b16 v39, v51 offset:4
	;; [unrolled: 3-line block ×3, first 2 shown]
	ds_write_b16 v42, v90
	v_mul_lo_u16 v0, 0xab, v57
	v_and_b32_e32 v52, 0xff, v48
	ds_write_b16 v42, v91 offset:2
	ds_write_b16 v42, v17 offset:4
	ds_write_b16 v43, v65
	ds_write_b16 v43, v66 offset:2
	ds_write_b16 v43, v16 offset:4
	ds_write_b16 v44, v64
	ds_write_b16 v44, v92 offset:2
	ds_write_b16 v44, v15 offset:4
	v_mov_b32_e32 v56, 4
	v_lshrrev_b16 v51, 9, v0
	v_mul_lo_u16 v4, 0xab, v52
	v_fmamk_f16 v105, v14, 0xbaee, v9
	v_fmac_f16_e32 v9, 0x3aee, v14
	ds_write_b16 v38, v94
	ds_write_b16 v38, v97 offset:2
	ds_write_b16 v38, v13 offset:4
	;; [unrolled: 1-line block ×3, first 2 shown]
	v_mul_lo_u16 v0, v51, 3
	v_lshrrev_b16 v66, 9, v4
	ds_write_b16 v103, v100 offset:5252
	ds_write_b16 v103, v12 offset:5254
	ds_write_b16 v103, v101 offset:6000
	ds_write_b16 v103, v102 offset:6002
	ds_write_b16 v103, v11 offset:6004
	ds_write_b16 v1, v104
	ds_write_b16 v1, v105 offset:2
	ds_write_b16 v1, v9 offset:4
	v_sub_nc_u16 v64, v37, v0
	s_waitcnt lgkmcnt(0)
	s_barrier
	buffer_gl0_inv
	v_mul_lo_u16 v4, v66, 3
	v_lshlrev_b32_sdwa v0, v56, v64 dst_sel:DWORD dst_unused:UNUSED_PAD src0_sel:DWORD src1_sel:BYTE_0
	v_mov_b32_e32 v12, 0xaaab
	v_cmp_gt_u32_e64 s0, 0x4b, v37
	v_sub_nc_u16 v65, v48, v4
	global_load_dwordx4 v[0:3], v0, s[12:13]
	v_mul_u32_u24_sdwa v8, v49, v12 dst_sel:DWORD dst_unused:UNUSED_PAD src0_sel:WORD_0 src1_sel:DWORD
	v_mul_u32_u24_sdwa v13, v53, v12 dst_sel:DWORD dst_unused:UNUSED_PAD src0_sel:WORD_0 src1_sel:DWORD
	;; [unrolled: 1-line block ×3, first 2 shown]
	v_lshlrev_b32_sdwa v4, v56, v65 dst_sel:DWORD dst_unused:UNUSED_PAD src0_sel:DWORD src1_sel:BYTE_0
	v_mul_u32_u24_sdwa v12, v55, v12 dst_sel:DWORD dst_unused:UNUSED_PAD src0_sel:WORD_0 src1_sel:DWORD
	v_lshrrev_b32_e32 v76, 17, v8
	v_lshrrev_b32_e32 v82, 17, v13
	;; [unrolled: 1-line block ×3, first 2 shown]
	global_load_dwordx4 v[4:7], v4, s[12:13]
	v_lshrrev_b32_e32 v91, 17, v12
	v_mul_lo_u16 v8, v76, 3
	v_mul_lo_u16 v13, v82, 3
	;; [unrolled: 1-line block ×4, first 2 shown]
	v_sub_nc_u16 v84, v49, v8
	v_sub_nc_u16 v90, v53, v13
	;; [unrolled: 1-line block ×4, first 2 shown]
	v_lshlrev_b32_sdwa v8, v56, v84 dst_sel:DWORD dst_unused:UNUSED_PAD src0_sel:DWORD src1_sel:WORD_0
	v_lshlrev_b32_sdwa v13, v56, v90 dst_sel:DWORD dst_unused:UNUSED_PAD src0_sel:DWORD src1_sel:WORD_0
	;; [unrolled: 1-line block ×3, first 2 shown]
	s_clause 0x1
	global_load_dwordx4 v[8:11], v8, s[12:13]
	global_load_dwordx4 v[20:23], v13, s[12:13]
	v_lshlrev_b32_sdwa v13, v56, v97 dst_sel:DWORD dst_unused:UNUSED_PAD src0_sel:DWORD src1_sel:WORD_0
	s_clause 0x1
	global_load_dwordx4 v[16:19], v13, s[12:13]
	global_load_dwordx4 v[12:15], v12, s[12:13]
	ds_read_u16 v108, v30
	ds_read_u16 v103, v40 offset:3250
	ds_read_u16 v105, v40 offset:6000
	;; [unrolled: 1-line block ×10, first 2 shown]
	ds_read_u16 v114, v32
	ds_read_u16 v113, v34
	;; [unrolled: 1-line block ×5, first 2 shown]
	ds_read_u16 v117, v40 offset:6250
	ds_read_u16 v118, v40 offset:6500
	;; [unrolled: 1-line block ×5, first 2 shown]
	s_waitcnt vmcnt(5) lgkmcnt(20)
	v_mul_f16_sdwa v115, v108, v0 dst_sel:DWORD dst_unused:UNUSED_PAD src0_sel:DWORD src1_sel:WORD_1
	v_mul_f16_sdwa v116, v93, v0 dst_sel:DWORD dst_unused:UNUSED_PAD src0_sel:DWORD src1_sel:WORD_1
	s_waitcnt lgkmcnt(17)
	v_mul_f16_sdwa v122, v109, v1 dst_sel:DWORD dst_unused:UNUSED_PAD src0_sel:DWORD src1_sel:WORD_1
	v_fma_f16 v93, v93, v0, -v115
	v_fmac_f16_e32 v116, v108, v0
	s_waitcnt lgkmcnt(15)
	v_mul_f16_sdwa v0, v107, v2 dst_sel:DWORD dst_unused:UNUSED_PAD src0_sel:DWORD src1_sel:WORD_1
	v_mul_f16_sdwa v108, v95, v2 dst_sel:DWORD dst_unused:UNUSED_PAD src0_sel:DWORD src1_sel:WORD_1
	;; [unrolled: 1-line block ×3, first 2 shown]
	v_fma_f16 v96, v96, v1, -v122
	s_waitcnt vmcnt(4)
	v_mul_f16_sdwa v122, v86, v4 dst_sel:DWORD dst_unused:UNUSED_PAD src0_sel:DWORD src1_sel:WORD_1
	v_fma_f16 v95, v95, v2, -v0
	v_mul_f16_sdwa v0, v105, v3 dst_sel:DWORD dst_unused:UNUSED_PAD src0_sel:DWORD src1_sel:WORD_1
	v_fmac_f16_e32 v108, v107, v2
	v_mul_f16_sdwa v107, v98, v3 dst_sel:DWORD dst_unused:UNUSED_PAD src0_sel:DWORD src1_sel:WORD_1
	s_waitcnt lgkmcnt(10)
	v_fmac_f16_e32 v122, v106, v4
	v_fmac_f16_e32 v115, v109, v1
	v_fma_f16 v98, v98, v3, -v0
	ds_read_u16 v109, v40 offset:5750
	v_fmac_f16_e32 v107, v105, v3
	v_mul_f16_sdwa v3, v106, v4 dst_sel:DWORD dst_unused:UNUSED_PAD src0_sel:DWORD src1_sel:WORD_1
	v_mul_f16_sdwa v106, v88, v5 dst_sel:DWORD dst_unused:UNUSED_PAD src0_sel:DWORD src1_sel:WORD_1
	ds_read_u16 v0, v40 offset:2000
	ds_read_u16 v1, v40 offset:2250
	;; [unrolled: 1-line block ×3, first 2 shown]
	ds_read_u16 v105, v40
	v_fma_f16 v123, v86, v4, -v3
	v_mul_f16_sdwa v3, v103, v5 dst_sel:DWORD dst_unused:UNUSED_PAD src0_sel:DWORD src1_sel:WORD_1
	v_fmac_f16_e32 v106, v103, v5
	v_mul_f16_sdwa v103, v87, v6 dst_sel:DWORD dst_unused:UNUSED_PAD src0_sel:DWORD src1_sel:WORD_1
	s_waitcnt lgkmcnt(9)
	v_mul_f16_sdwa v4, v117, v7 dst_sel:DWORD dst_unused:UNUSED_PAD src0_sel:DWORD src1_sel:WORD_1
	s_waitcnt vmcnt(3)
	v_mul_f16_sdwa v126, v83, v9 dst_sel:DWORD dst_unused:UNUSED_PAD src0_sel:DWORD src1_sel:WORD_1
	v_fma_f16 v88, v88, v5, -v3
	v_mul_f16_sdwa v3, v104, v6 dst_sel:DWORD dst_unused:UNUSED_PAD src0_sel:DWORD src1_sel:WORD_1
	v_fmac_f16_e32 v103, v104, v6
	v_fma_f16 v104, v89, v7, -v4
	v_mul_f16_sdwa v89, v89, v7 dst_sel:DWORD dst_unused:UNUSED_PAD src0_sel:DWORD src1_sel:WORD_1
	ds_read_u16 v5, v40 offset:3750
	v_fma_f16 v124, v87, v6, -v3
	ds_read_u16 v6, v40 offset:4000
	ds_read_u16 v3, v40 offset:3500
	v_fmac_f16_e32 v89, v117, v7
	v_mul_f16_sdwa v117, v81, v8 dst_sel:DWORD dst_unused:UNUSED_PAD src0_sel:DWORD src1_sel:WORD_1
	s_waitcnt lgkmcnt(6)
	v_mul_f16_sdwa v4, v0, v8 dst_sel:DWORD dst_unused:UNUSED_PAD src0_sel:DWORD src1_sel:WORD_1
	v_mul_f16_sdwa v130, v85, v11 dst_sel:DWORD dst_unused:UNUSED_PAD src0_sel:DWORD src1_sel:WORD_1
	;; [unrolled: 1-line block ×3, first 2 shown]
	s_waitcnt vmcnt(2)
	v_mul_f16_sdwa v134, v68, v22 dst_sel:DWORD dst_unused:UNUSED_PAD src0_sel:DWORD src1_sel:WORD_1
	v_fmac_f16_e32 v117, v0, v8
	v_mul_f16_sdwa v0, v102, v10 dst_sel:DWORD dst_unused:UNUSED_PAD src0_sel:DWORD src1_sel:WORD_1
	v_fmac_f16_e32 v130, v118, v11
	v_fmac_f16_e32 v128, v102, v10
	v_mul_f16_sdwa v131, v79, v21 dst_sel:DWORD dst_unused:UNUSED_PAD src0_sel:DWORD src1_sel:WORD_1
	v_fmac_f16_e32 v134, v101, v22
	v_fma_f16 v129, v78, v10, -v0
	ds_read_u16 v0, v40 offset:5500
	v_fma_f16 v125, v81, v8, -v4
	s_waitcnt vmcnt(1)
	v_mul_f16_sdwa v8, v75, v19 dst_sel:DWORD dst_unused:UNUSED_PAD src0_sel:DWORD src1_sel:WORD_1
	s_waitcnt lgkmcnt(3)
	v_mul_f16_sdwa v4, v5, v21 dst_sel:DWORD dst_unused:UNUSED_PAD src0_sel:DWORD src1_sel:WORD_1
	v_fmac_f16_e32 v131, v5, v21
	s_waitcnt vmcnt(0)
	v_mul_f16_sdwa v10, v121, v15 dst_sel:DWORD dst_unused:UNUSED_PAD src0_sel:DWORD src1_sel:WORD_1
	s_waitcnt lgkmcnt(1)
	v_mul_f16_sdwa v7, v3, v9 dst_sel:DWORD dst_unused:UNUSED_PAD src0_sel:DWORD src1_sel:WORD_1
	v_fmac_f16_e32 v126, v3, v9
	v_mul_f16_sdwa v3, v118, v11 dst_sel:DWORD dst_unused:UNUSED_PAD src0_sel:DWORD src1_sel:WORD_1
	v_mul_f16_sdwa v118, v77, v20 dst_sel:DWORD dst_unused:UNUSED_PAD src0_sel:DWORD src1_sel:WORD_1
	v_fma_f16 v133, v79, v21, -v4
	v_fma_f16 v127, v83, v9, -v7
	v_mul_f16_sdwa v9, v69, v16 dst_sel:DWORD dst_unused:UNUSED_PAD src0_sel:DWORD src1_sel:WORD_1
	v_fma_f16 v102, v85, v11, -v3
	v_mul_f16_sdwa v3, v1, v20 dst_sel:DWORD dst_unused:UNUSED_PAD src0_sel:DWORD src1_sel:WORD_1
	v_fmac_f16_e32 v118, v1, v20
	v_mul_f16_sdwa v1, v101, v22 dst_sel:DWORD dst_unused:UNUSED_PAD src0_sel:DWORD src1_sel:WORD_1
	v_mul_f16_sdwa v7, v70, v18 dst_sel:DWORD dst_unused:UNUSED_PAD src0_sel:DWORD src1_sel:WORD_1
	;; [unrolled: 1-line block ×3, first 2 shown]
	v_fma_f16 v132, v77, v20, -v3
	v_mul_f16_sdwa v3, v119, v23 dst_sel:DWORD dst_unused:UNUSED_PAD src0_sel:DWORD src1_sel:WORD_1
	v_fma_f16 v135, v68, v22, -v1
	v_mul_f16_sdwa v1, v2, v16 dst_sel:DWORD dst_unused:UNUSED_PAD src0_sel:DWORD src1_sel:WORD_1
	v_fmac_f16_e32 v9, v2, v16
	s_waitcnt lgkmcnt(0)
	v_fmac_f16_e32 v7, v0, v18
	v_fma_f16 v22, v80, v23, -v3
	v_mul_f16_sdwa v3, v0, v18 dst_sel:DWORD dst_unused:UNUSED_PAD src0_sel:DWORD src1_sel:WORD_1
	v_fma_f16 v20, v69, v16, -v1
	v_mul_f16_sdwa v1, v6, v17 dst_sel:DWORD dst_unused:UNUSED_PAD src0_sel:DWORD src1_sel:WORD_1
	v_mul_f16_sdwa v0, v100, v12 dst_sel:DWORD dst_unused:UNUSED_PAD src0_sel:DWORD src1_sel:WORD_1
	v_fmac_f16_e32 v11, v6, v17
	v_mul_f16_sdwa v2, v72, v12 dst_sel:DWORD dst_unused:UNUSED_PAD src0_sel:DWORD src1_sel:WORD_1
	v_mul_f16_sdwa v21, v80, v23 dst_sel:DWORD dst_unused:UNUSED_PAD src0_sel:DWORD src1_sel:WORD_1
	v_fma_f16 v16, v71, v17, -v1
	v_mul_f16_sdwa v1, v120, v19 dst_sel:DWORD dst_unused:UNUSED_PAD src0_sel:DWORD src1_sel:WORD_1
	v_fma_f16 v17, v70, v18, -v3
	v_fma_f16 v5, v72, v12, -v0
	v_mul_f16_sdwa v0, v109, v14 dst_sel:DWORD dst_unused:UNUSED_PAD src0_sel:DWORD src1_sel:WORD_1
	v_fmac_f16_e32 v2, v100, v12
	v_fma_f16 v18, v75, v19, -v1
	v_mul_f16_sdwa v1, v99, v13 dst_sel:DWORD dst_unused:UNUSED_PAD src0_sel:DWORD src1_sel:WORD_1
	v_mul_f16_sdwa v3, v73, v13 dst_sel:DWORD dst_unused:UNUSED_PAD src0_sel:DWORD src1_sel:WORD_1
	v_add_f16_e32 v12, v96, v95
	v_fma_f16 v6, v74, v14, -v0
	v_mul_f16_sdwa v0, v67, v15 dst_sel:DWORD dst_unused:UNUSED_PAD src0_sel:DWORD src1_sel:WORD_1
	v_fma_f16 v4, v73, v13, -v1
	v_mul_f16_sdwa v1, v74, v14 dst_sel:DWORD dst_unused:UNUSED_PAD src0_sel:DWORD src1_sel:WORD_1
	v_fmac_f16_e32 v8, v120, v19
	v_fmac_f16_e32 v3, v99, v13
	v_fma_f16 v10, v67, v15, -v10
	v_fma_f16 v12, -0.5, v12, v63
	v_fmac_f16_e32 v1, v109, v14
	v_sub_f16_e32 v13, v116, v107
	v_sub_f16_e32 v14, v93, v96
	;; [unrolled: 1-line block ×3, first 2 shown]
	v_fmac_f16_e32 v0, v121, v15
	v_add_f16_e32 v15, v93, v98
	v_fmac_f16_e32 v21, v119, v23
	v_fmamk_f16 v23, v13, 0x3b9c, v12
	v_sub_f16_e32 v67, v115, v108
	v_add_f16_e32 v14, v14, v19
	v_add_f16_e32 v19, v63, v93
	v_fmac_f16_e32 v63, -0.5, v15
	v_fmac_f16_e32 v12, 0xbb9c, v13
	v_fmac_f16_e32 v23, 0x38b4, v67
	v_sub_f16_e32 v15, v96, v93
	v_sub_f16_e32 v68, v95, v98
	v_fmamk_f16 v69, v67, 0xbb9c, v63
	v_fmac_f16_e32 v63, 0x3b9c, v67
	v_fmac_f16_e32 v12, 0xb8b4, v67
	v_add_f16_e32 v19, v19, v96
	v_add_f16_e32 v15, v15, v68
	v_fmac_f16_e32 v69, 0x38b4, v13
	v_fmac_f16_e32 v63, 0xb8b4, v13
	;; [unrolled: 1-line block ×4, first 2 shown]
	v_add_f16_e32 v14, v115, v108
	v_add_f16_e32 v68, v116, v107
	v_add_f16_e32 v13, v19, v95
	v_fmac_f16_e32 v69, 0x34f2, v15
	v_fmac_f16_e32 v63, 0x34f2, v15
	v_sub_f16_e32 v15, v93, v98
	v_sub_f16_e32 v19, v116, v115
	;; [unrolled: 1-line block ×3, first 2 shown]
	v_fma_f16 v14, -0.5, v14, v105
	v_add_f16_e32 v70, v105, v116
	v_sub_f16_e32 v71, v96, v95
	v_fmac_f16_e32 v105, -0.5, v68
	v_add_f16_e32 v19, v19, v67
	v_fmamk_f16 v93, v15, 0xbb9c, v14
	v_add_f16_e32 v67, v70, v115
	v_sub_f16_e32 v68, v115, v116
	v_fmac_f16_e32 v14, 0x3b9c, v15
	v_sub_f16_e32 v70, v108, v107
	v_fmamk_f16 v95, v71, 0x3b9c, v105
	v_fmac_f16_e32 v105, 0xbb9c, v71
	v_fmac_f16_e32 v93, 0xb8b4, v71
	;; [unrolled: 1-line block ×3, first 2 shown]
	v_add_f16_e32 v67, v67, v108
	v_add_f16_e32 v68, v68, v70
	v_fmac_f16_e32 v95, 0xb8b4, v15
	v_fmac_f16_e32 v105, 0x38b4, v15
	v_add_f16_e32 v15, v88, v124
	v_add_f16_e32 v96, v67, v107
	v_fmac_f16_e32 v93, 0x34f2, v19
	v_fmac_f16_e32 v14, 0x34f2, v19
	;; [unrolled: 1-line block ×3, first 2 shown]
	v_fma_f16 v15, -0.5, v15, v62
	v_sub_f16_e32 v19, v122, v89
	v_fmac_f16_e32 v105, 0x34f2, v68
	v_sub_f16_e32 v67, v123, v88
	v_sub_f16_e32 v68, v104, v124
	v_add_f16_e32 v70, v123, v104
	v_fmamk_f16 v71, v19, 0x3b9c, v15
	v_sub_f16_e32 v72, v106, v103
	v_fmac_f16_e32 v15, 0xbb9c, v19
	v_add_f16_e32 v67, v67, v68
	v_add_f16_e32 v68, v62, v123
	v_fmac_f16_e32 v62, -0.5, v70
	v_fmac_f16_e32 v71, 0x38b4, v72
	v_fmac_f16_e32 v15, 0xb8b4, v72
	v_sub_f16_e32 v70, v88, v123
	v_sub_f16_e32 v73, v124, v104
	v_fmamk_f16 v74, v72, 0xbb9c, v62
	v_fmac_f16_e32 v62, 0x3b9c, v72
	v_fmac_f16_e32 v71, 0x34f2, v67
	v_fmac_f16_e32 v15, 0x34f2, v67
	v_add_f16_e32 v67, v70, v73
	v_fmac_f16_e32 v74, 0x38b4, v19
	v_add_f16_e32 v70, v127, v129
	v_sub_f16_e32 v72, v125, v127
	v_sub_f16_e32 v73, v102, v129
	v_fmac_f16_e32 v62, 0xb8b4, v19
	v_add_f16_e32 v19, v125, v102
	v_fma_f16 v70, -0.5, v70, v61
	v_sub_f16_e32 v75, v117, v130
	v_add_f16_e32 v72, v72, v73
	v_add_f16_e32 v73, v61, v125
	v_fmac_f16_e32 v61, -0.5, v19
	v_sub_f16_e32 v19, v126, v128
	v_fmamk_f16 v77, v75, 0x3b9c, v70
	v_fmac_f16_e32 v70, 0xbb9c, v75
	v_sub_f16_e32 v78, v127, v125
	v_sub_f16_e32 v79, v129, v102
	v_fmamk_f16 v80, v19, 0xbb9c, v61
	v_fmac_f16_e32 v61, 0x3b9c, v19
	v_fmac_f16_e32 v77, 0x38b4, v19
	;; [unrolled: 1-line block ×3, first 2 shown]
	v_add_f16_e32 v19, v78, v79
	v_fmac_f16_e32 v80, 0x38b4, v75
	v_fmac_f16_e32 v61, 0xb8b4, v75
	v_add_f16_e32 v75, v133, v135
	v_fmac_f16_e32 v74, 0x34f2, v67
	v_fmac_f16_e32 v62, 0x34f2, v67
	;; [unrolled: 1-line block ×4, first 2 shown]
	v_fma_f16 v67, -0.5, v75, v60
	v_sub_f16_e32 v72, v118, v21
	v_fmac_f16_e32 v80, 0x34f2, v19
	v_fmac_f16_e32 v61, 0x34f2, v19
	v_sub_f16_e32 v19, v132, v133
	v_sub_f16_e32 v75, v22, v135
	v_fmamk_f16 v78, v72, 0x3b9c, v67
	v_sub_f16_e32 v79, v131, v134
	v_fmac_f16_e32 v67, 0xbb9c, v72
	v_add_f16_e32 v81, v132, v22
	v_add_f16_e32 v19, v19, v75
	;; [unrolled: 1-line block ×3, first 2 shown]
	v_fmac_f16_e32 v78, 0x38b4, v79
	v_fmac_f16_e32 v67, 0xb8b4, v79
	v_fmac_f16_e32 v60, -0.5, v81
	v_sub_f16_e32 v81, v133, v132
	v_sub_f16_e32 v83, v135, v22
	v_fmac_f16_e32 v78, 0x34f2, v19
	v_fmac_f16_e32 v67, 0x34f2, v19
	v_fmamk_f16 v19, v79, 0xbb9c, v60
	v_fmac_f16_e32 v60, 0x3b9c, v79
	v_add_f16_e32 v79, v81, v83
	v_add_f16_e32 v83, v16, v17
	v_sub_f16_e32 v81, v20, v16
	v_sub_f16_e32 v85, v18, v17
	v_fmac_f16_e32 v19, 0x38b4, v72
	v_fmac_f16_e32 v60, 0xb8b4, v72
	v_add_f16_e32 v72, v20, v18
	v_fma_f16 v83, -0.5, v83, v59
	v_sub_f16_e32 v86, v9, v8
	v_add_f16_e32 v81, v81, v85
	v_add_f16_e32 v85, v59, v20
	v_fmac_f16_e32 v59, -0.5, v72
	v_sub_f16_e32 v87, v11, v7
	v_fmamk_f16 v72, v86, 0x3b9c, v83
	v_fmac_f16_e32 v83, 0xbb9c, v86
	v_add_f16_e32 v13, v13, v98
	v_sub_f16_e32 v99, v17, v18
	v_fmamk_f16 v98, v87, 0xbb9c, v59
	v_fmac_f16_e32 v72, 0x38b4, v87
	v_fmac_f16_e32 v83, 0xb8b4, v87
	;; [unrolled: 1-line block ×3, first 2 shown]
	v_sub_f16_e32 v87, v16, v20
	v_fmac_f16_e32 v19, 0x34f2, v79
	v_fmac_f16_e32 v60, 0x34f2, v79
	;; [unrolled: 1-line block ×4, first 2 shown]
	v_sub_f16_e32 v79, v5, v4
	v_sub_f16_e32 v81, v10, v6
	v_add_f16_e32 v87, v87, v99
	v_fmac_f16_e32 v98, 0x38b4, v86
	v_fmac_f16_e32 v59, 0xb8b4, v86
	v_add_f16_e32 v86, v5, v10
	v_add_f16_e32 v79, v79, v81
	;; [unrolled: 1-line block ×3, first 2 shown]
	v_fmac_f16_e32 v98, 0x34f2, v87
	v_fmac_f16_e32 v59, 0x34f2, v87
	v_add_f16_e32 v87, v58, v5
	v_sub_f16_e32 v100, v3, v1
	v_fma_f16 v81, -0.5, v81, v58
	v_fmac_f16_e32 v58, -0.5, v86
	v_sub_f16_e32 v86, v2, v0
	v_sub_f16_e32 v101, v6, v10
	s_barrier
	buffer_gl0_inv
	v_fmamk_f16 v99, v86, 0x3b9c, v81
	v_fmac_f16_e32 v81, 0xbb9c, v86
	v_fmac_f16_e32 v99, 0x38b4, v100
	;; [unrolled: 1-line block ×5, first 2 shown]
	v_fmamk_f16 v79, v100, 0xbb9c, v58
	v_fmac_f16_e32 v58, 0x3b9c, v100
	v_sub_f16_e32 v100, v4, v5
	v_sub_f16_e32 v5, v5, v10
	v_fmac_f16_e32 v79, 0x38b4, v86
	v_fmac_f16_e32 v58, 0xb8b4, v86
	v_mov_b32_e32 v86, 30
	v_add_f16_e32 v100, v100, v101
	v_mul_u32_u24_sdwa v101, v51, v86 dst_sel:DWORD dst_unused:UNUSED_PAD src0_sel:WORD_0 src1_sel:DWORD
	v_mov_b32_e32 v51, 1
	v_fmac_f16_e32 v79, 0x34f2, v100
	v_fmac_f16_e32 v58, 0x34f2, v100
	v_lshlrev_b32_sdwa v64, v51, v64 dst_sel:DWORD dst_unused:UNUSED_PAD src0_sel:DWORD src1_sel:BYTE_0
	v_add3_u32 v101, 0, v101, v64
	ds_write_b16 v101, v13
	ds_write_b16 v101, v23 offset:6
	v_add_f16_e32 v23, v68, v88
	v_mul_u32_u24_sdwa v13, v66, v86 dst_sel:DWORD dst_unused:UNUSED_PAD src0_sel:WORD_0 src1_sel:DWORD
	v_lshlrev_b32_sdwa v64, v51, v65 dst_sel:DWORD dst_unused:UNUSED_PAD src0_sel:DWORD src1_sel:BYTE_0
	ds_write_b16 v101, v69 offset:12
	ds_write_b16 v101, v63 offset:18
	;; [unrolled: 1-line block ×3, first 2 shown]
	v_add_f16_e32 v12, v73, v127
	v_add_f16_e32 v23, v23, v124
	v_lshlrev_b32_sdwa v63, v51, v84 dst_sel:DWORD dst_unused:UNUSED_PAD src0_sel:DWORD src1_sel:WORD_0
	v_add3_u32 v13, 0, v13, v64
	v_lshlrev_b32_sdwa v64, v51, v90 dst_sel:DWORD dst_unused:UNUSED_PAD src0_sel:DWORD src1_sel:WORD_0
	v_add_f16_e32 v12, v12, v129
	v_add_f16_e32 v23, v23, v104
	ds_write_b16 v13, v23
	ds_write_b16 v13, v71 offset:6
	v_mul_u32_u24_e32 v23, 30, v76
	ds_write_b16 v13, v74 offset:12
	ds_write_b16 v13, v62 offset:18
	v_add_f16_e32 v62, v75, v133
	v_add_f16_e32 v12, v12, v102
	v_add3_u32 v23, 0, v23, v63
	v_mul_u32_u24_e32 v63, 30, v82
	v_add_f16_e32 v62, v62, v135
	ds_write_b16 v13, v15 offset:24
	ds_write_b16 v23, v12
	ds_write_b16 v23, v77 offset:6
	ds_write_b16 v23, v80 offset:12
	ds_write_b16 v23, v61 offset:18
	v_add3_u32 v12, 0, v63, v64
	v_add_f16_e32 v15, v62, v22
	v_add_f16_e32 v61, v85, v16
	ds_write_b16 v23, v70 offset:24
	ds_write_b16 v12, v15
	v_mul_u32_u24_e32 v15, 30, v94
	v_lshlrev_b32_sdwa v62, v51, v97 dst_sel:DWORD dst_unused:UNUSED_PAD src0_sel:DWORD src1_sel:WORD_0
	ds_write_b16 v12, v78 offset:6
	ds_write_b16 v12, v19 offset:12
	v_add_f16_e32 v19, v87, v4
	v_add_f16_e32 v61, v61, v17
	v_lshlrev_b32_sdwa v63, v51, v92 dst_sel:DWORD dst_unused:UNUSED_PAD src0_sel:DWORD src1_sel:WORD_0
	v_add3_u32 v15, 0, v15, v62
	v_mul_u32_u24_e32 v62, 30, v91
	v_add_f16_e32 v19, v19, v6
	v_add_f16_e32 v61, v61, v18
	ds_write_b16 v12, v60 offset:18
	ds_write_b16 v12, v67 offset:24
	ds_write_b16 v15, v61
	v_add3_u32 v90, 0, v62, v63
	v_add_f16_e32 v19, v19, v10
	ds_write_b16 v15, v72 offset:6
	ds_write_b16 v15, v98 offset:12
	;; [unrolled: 1-line block ×4, first 2 shown]
	ds_write_b16 v90, v19
	ds_write_b16 v90, v99 offset:6
	ds_write_b16 v90, v79 offset:12
	;; [unrolled: 1-line block ×4, first 2 shown]
	v_add_f16_e32 v19, v106, v103
	v_add_f16_e32 v91, v122, v89
	;; [unrolled: 1-line block ×3, first 2 shown]
	s_waitcnt lgkmcnt(0)
	s_barrier
	buffer_gl0_inv
	ds_read_u16 v74, v40 offset:5000
	ds_read_u16 v69, v40 offset:5250
	ds_read_u16 v63, v40
	ds_read_u16 v80, v40 offset:1750
	ds_read_u16 v78, v40 offset:2000
	;; [unrolled: 1-line block ×8, first 2 shown]
	ds_read_u16 v86, v30
	ds_read_u16 v62, v32
	;; [unrolled: 1-line block ×6, first 2 shown]
	ds_read_u16 v81, v40 offset:3250
	ds_read_u16 v87, v40 offset:3000
	;; [unrolled: 1-line block ×13, first 2 shown]
	s_waitcnt lgkmcnt(0)
	s_barrier
	buffer_gl0_inv
	ds_write_b16 v101, v96
	ds_write_b16 v101, v93 offset:6
	ds_write_b16 v101, v95 offset:12
	;; [unrolled: 1-line block ×4, first 2 shown]
	v_sub_f16_e32 v14, v88, v124
	v_fma_f16 v19, -0.5, v19, v114
	v_fmac_f16_e32 v114, -0.5, v91
	v_add_f16_e32 v88, v92, v106
	v_sub_f16_e32 v91, v122, v106
	v_sub_f16_e32 v92, v89, v103
	;; [unrolled: 1-line block ×5, first 2 shown]
	v_fmamk_f16 v96, v14, 0x3b9c, v114
	v_add_f16_e32 v91, v91, v92
	v_fmamk_f16 v92, v93, 0xbb9c, v19
	v_fmac_f16_e32 v114, 0xbb9c, v14
	v_add_f16_e32 v88, v88, v103
	v_fmac_f16_e32 v19, 0x3b9c, v93
	v_add_f16_e32 v94, v94, v95
	v_fmac_f16_e32 v92, 0xb8b4, v14
	v_fmac_f16_e32 v96, 0xb8b4, v93
	;; [unrolled: 1-line block ×4, first 2 shown]
	v_add_f16_e32 v14, v88, v89
	v_fmac_f16_e32 v92, 0x34f2, v91
	v_fmac_f16_e32 v96, 0x34f2, v94
	;; [unrolled: 1-line block ×4, first 2 shown]
	ds_write_b16 v13, v14
	ds_write_b16 v13, v92 offset:6
	ds_write_b16 v13, v96 offset:12
	ds_write_b16 v13, v114 offset:18
	v_add_f16_e32 v14, v126, v128
	v_add_f16_e32 v88, v117, v130
	v_add_f16_e32 v89, v113, v117
	ds_write_b16 v13, v19 offset:24
	v_sub_f16_e32 v91, v125, v102
	v_fma_f16 v14, -0.5, v14, v113
	v_fmac_f16_e32 v113, -0.5, v88
	v_add_f16_e32 v19, v89, v126
	v_sub_f16_e32 v88, v117, v126
	v_sub_f16_e32 v89, v130, v128
	;; [unrolled: 1-line block ×5, first 2 shown]
	v_add_f16_e32 v19, v19, v128
	v_add_f16_e32 v88, v88, v89
	v_fmamk_f16 v89, v91, 0xbb9c, v14
	v_fmamk_f16 v94, v13, 0x3b9c, v113
	v_fmac_f16_e32 v113, 0xbb9c, v13
	v_fmac_f16_e32 v14, 0x3b9c, v91
	v_add_f16_e32 v92, v92, v93
	v_fmac_f16_e32 v89, 0xb8b4, v13
	v_fmac_f16_e32 v94, 0xb8b4, v91
	;; [unrolled: 1-line block ×4, first 2 shown]
	v_add_f16_e32 v13, v19, v130
	v_fmac_f16_e32 v89, 0x34f2, v88
	v_fmac_f16_e32 v94, 0x34f2, v92
	;; [unrolled: 1-line block ×4, first 2 shown]
	ds_write_b16 v23, v13
	ds_write_b16 v23, v89 offset:6
	ds_write_b16 v23, v94 offset:12
	ds_write_b16 v23, v113 offset:18
	v_add_f16_e32 v13, v131, v134
	v_add_f16_e32 v19, v118, v21
	;; [unrolled: 1-line block ×3, first 2 shown]
	ds_write_b16 v23, v14 offset:24
	v_sub_f16_e32 v23, v118, v131
	v_fma_f16 v13, -0.5, v13, v112
	v_fmac_f16_e32 v112, -0.5, v19
	v_add_f16_e32 v19, v88, v131
	v_sub_f16_e32 v88, v21, v134
	v_sub_f16_e32 v22, v132, v22
	;; [unrolled: 1-line block ×5, first 2 shown]
	v_add_f16_e32 v23, v23, v88
	v_fmamk_f16 v88, v22, 0xbb9c, v13
	v_fmamk_f16 v92, v14, 0x3b9c, v112
	v_fmac_f16_e32 v112, 0xbb9c, v14
	v_add_f16_e32 v19, v19, v134
	v_fmac_f16_e32 v13, 0x3b9c, v22
	v_fmac_f16_e32 v88, 0xb8b4, v14
	v_add_f16_e32 v89, v89, v91
	v_fmac_f16_e32 v92, 0xb8b4, v22
	v_fmac_f16_e32 v112, 0x38b4, v22
	;; [unrolled: 1-line block ×3, first 2 shown]
	v_add_f16_e32 v14, v19, v21
	v_fmac_f16_e32 v88, 0x34f2, v23
	v_fmac_f16_e32 v92, 0x34f2, v89
	;; [unrolled: 1-line block ×4, first 2 shown]
	ds_write_b16 v12, v14
	ds_write_b16 v12, v88 offset:6
	ds_write_b16 v12, v92 offset:12
	;; [unrolled: 1-line block ×3, first 2 shown]
	v_add_f16_e32 v14, v11, v7
	v_add_f16_e32 v19, v9, v8
	v_sub_f16_e32 v16, v16, v17
	ds_write_b16 v12, v13 offset:24
	v_sub_f16_e32 v12, v20, v18
	v_sub_f16_e32 v13, v9, v11
	;; [unrolled: 1-line block ×3, first 2 shown]
	v_fma_f16 v14, -0.5, v14, v111
	v_add_f16_e32 v20, v111, v9
	v_fmac_f16_e32 v111, -0.5, v19
	v_sub_f16_e32 v9, v11, v9
	v_add_f16_e32 v13, v13, v18
	v_sub_f16_e32 v4, v4, v6
	v_add_f16_e32 v18, v20, v11
	v_sub_f16_e32 v11, v7, v8
	v_fmamk_f16 v19, v16, 0x3b9c, v111
	v_fmac_f16_e32 v111, 0xbb9c, v16
	v_add_f16_e32 v6, v110, v2
	v_add_f16_e32 v7, v18, v7
	;; [unrolled: 1-line block ×3, first 2 shown]
	v_fmac_f16_e32 v19, 0xb8b4, v12
	v_fmac_f16_e32 v111, 0x38b4, v12
	v_add_f16_e32 v11, v2, v0
	v_add_f16_e32 v7, v7, v8
	;; [unrolled: 1-line block ×3, first 2 shown]
	v_fmac_f16_e32 v19, 0x34f2, v9
	v_fmac_f16_e32 v111, 0x34f2, v9
	v_sub_f16_e32 v9, v2, v3
	v_add_f16_e32 v6, v6, v3
	v_sub_f16_e32 v2, v3, v2
	v_sub_f16_e32 v3, v1, v0
	;; [unrolled: 1-line block ×3, first 2 shown]
	v_fma_f16 v8, -0.5, v8, v110
	v_fmac_f16_e32 v110, -0.5, v11
	v_fmamk_f16 v17, v12, 0xbb9c, v14
	v_add_f16_e32 v2, v2, v3
	v_mul_lo_u16 v3, 0x89, v57
	v_add_f16_e32 v1, v6, v1
	v_add_f16_e32 v9, v9, v10
	v_fmamk_f16 v10, v5, 0xbb9c, v8
	v_fmamk_f16 v11, v4, 0x3b9c, v110
	v_lshrrev_b16 v57, 11, v3
	v_fmac_f16_e32 v14, 0x3b9c, v12
	v_fmac_f16_e32 v110, 0xbb9c, v4
	;; [unrolled: 1-line block ×4, first 2 shown]
	v_add_f16_e32 v0, v1, v0
	v_mul_lo_u16 v1, v57, 15
	v_fmac_f16_e32 v10, 0xb8b4, v4
	v_fmac_f16_e32 v11, 0xb8b4, v5
	;; [unrolled: 1-line block ×6, first 2 shown]
	v_sub_nc_u16 v88, v37, v1
	v_fmac_f16_e32 v10, 0x34f2, v9
	v_fmac_f16_e32 v11, 0x34f2, v2
	;; [unrolled: 1-line block ×5, first 2 shown]
	ds_write_b16 v15, v7
	ds_write_b16 v15, v17 offset:6
	ds_write_b16 v15, v19 offset:12
	;; [unrolled: 1-line block ×4, first 2 shown]
	ds_write_b16 v90, v0
	ds_write_b16 v90, v10 offset:6
	ds_write_b16 v90, v11 offset:12
	;; [unrolled: 1-line block ×3, first 2 shown]
	v_lshlrev_b32_sdwa v0, v56, v88 dst_sel:DWORD dst_unused:UNUSED_PAD src0_sel:DWORD src1_sel:BYTE_0
	v_mul_lo_u16 v4, 0x89, v52
	ds_write_b16 v90, v8 offset:24
	s_waitcnt lgkmcnt(0)
	s_barrier
	buffer_gl0_inv
	global_load_dwordx4 v[0:3], v0, s[12:13] offset:48
	v_lshrrev_b16 v89, 11, v4
	v_mov_b32_e32 v16, 0x8889
	v_lshlrev_b32_sdwa v88, v51, v88 dst_sel:DWORD dst_unused:UNUSED_PAD src0_sel:DWORD src1_sel:BYTE_0
	v_mul_lo_u16 v4, v89, 15
	v_sub_nc_u16 v90, v48, v4
	v_mul_u32_u24_sdwa v4, v49, v16 dst_sel:DWORD dst_unused:UNUSED_PAD src0_sel:WORD_0 src1_sel:DWORD
	v_lshlrev_b32_sdwa v5, v56, v90 dst_sel:DWORD dst_unused:UNUSED_PAD src0_sel:DWORD src1_sel:BYTE_0
	v_lshrrev_b32_e32 v92, 19, v4
	global_load_dwordx4 v[8:11], v5, s[12:13] offset:48
	v_mul_lo_u16 v4, v92, 15
	v_sub_nc_u16 v93, v49, v4
	v_mul_u32_u24_sdwa v4, v53, v16 dst_sel:DWORD dst_unused:UNUSED_PAD src0_sel:WORD_0 src1_sel:DWORD
	v_lshlrev_b32_sdwa v5, v56, v93 dst_sel:DWORD dst_unused:UNUSED_PAD src0_sel:DWORD src1_sel:WORD_0
	v_lshrrev_b32_e32 v91, 19, v4
	global_load_dwordx4 v[4:7], v5, s[12:13] offset:48
	v_mul_lo_u16 v12, v91, 15
	v_sub_nc_u16 v53, v53, v12
	v_mul_u32_u24_sdwa v12, v54, v16 dst_sel:DWORD dst_unused:UNUSED_PAD src0_sel:WORD_0 src1_sel:DWORD
	v_mul_u32_u24_sdwa v16, v55, v16 dst_sel:DWORD dst_unused:UNUSED_PAD src0_sel:WORD_0 src1_sel:DWORD
	v_lshlrev_b32_sdwa v13, v56, v53 dst_sel:DWORD dst_unused:UNUSED_PAD src0_sel:DWORD src1_sel:WORD_0
	v_lshrrev_b32_e32 v94, 19, v12
	v_lshrrev_b32_e32 v95, 19, v16
	global_load_dwordx4 v[12:15], v13, s[12:13] offset:48
	v_mul_lo_u16 v17, v94, 15
	v_mul_lo_u16 v16, v95, 15
	v_sub_nc_u16 v54, v54, v17
	v_sub_nc_u16 v55, v55, v16
	v_lshlrev_b32_sdwa v17, v56, v54 dst_sel:DWORD dst_unused:UNUSED_PAD src0_sel:DWORD src1_sel:WORD_0
	v_lshlrev_b32_sdwa v16, v56, v55 dst_sel:DWORD dst_unused:UNUSED_PAD src0_sel:DWORD src1_sel:WORD_0
	s_clause 0x1
	global_load_dwordx4 v[20:23], v17, s[12:13] offset:48
	global_load_dwordx4 v[16:19], v16, s[12:13] offset:48
	ds_read_u16 v97, v30
	ds_read_u16 v96, v40 offset:3000
	ds_read_u16 v56, v40 offset:4500
	ds_read_u16 v102, v32
	ds_read_u16 v101, v34
	;; [unrolled: 1-line block ×5, first 2 shown]
	ds_read_u16 v105, v40 offset:6000
	ds_read_u16 v106, v40 offset:3250
	;; [unrolled: 1-line block ×3, first 2 shown]
	s_waitcnt vmcnt(5) lgkmcnt(10)
	v_mul_f16_sdwa v103, v97, v0 dst_sel:DWORD dst_unused:UNUSED_PAD src0_sel:DWORD src1_sel:WORD_1
	v_mul_f16_sdwa v104, v86, v0 dst_sel:DWORD dst_unused:UNUSED_PAD src0_sel:DWORD src1_sel:WORD_1
	s_waitcnt lgkmcnt(9)
	v_mul_f16_sdwa v108, v96, v1 dst_sel:DWORD dst_unused:UNUSED_PAD src0_sel:DWORD src1_sel:WORD_1
	s_waitcnt lgkmcnt(8)
	v_mul_f16_sdwa v111, v56, v2 dst_sel:DWORD dst_unused:UNUSED_PAD src0_sel:DWORD src1_sel:WORD_1
	v_mul_f16_sdwa v112, v84, v2 dst_sel:DWORD dst_unused:UNUSED_PAD src0_sel:DWORD src1_sel:WORD_1
	v_fma_f16 v86, v86, v0, -v103
	v_fmac_f16_e32 v104, v97, v0
	ds_read_u16 v0, v40 offset:1750
	v_mul_f16_sdwa v97, v87, v1 dst_sel:DWORD dst_unused:UNUSED_PAD src0_sel:DWORD src1_sel:WORD_1
	s_waitcnt lgkmcnt(3)
	v_mul_f16_sdwa v119, v105, v3 dst_sel:DWORD dst_unused:UNUSED_PAD src0_sel:DWORD src1_sel:WORD_1
	v_fma_f16 v87, v87, v1, -v108
	ds_read_u16 v103, v40 offset:4750
	ds_read_u16 v108, v40 offset:5000
	;; [unrolled: 1-line block ×10, first 2 shown]
	v_fmac_f16_e32 v97, v96, v1
	v_fma_f16 v84, v84, v2, -v111
	v_fmac_f16_e32 v112, v56, v2
	v_mul_f16_sdwa v2, v85, v3 dst_sel:DWORD dst_unused:UNUSED_PAD src0_sel:DWORD src1_sel:WORD_1
	v_fma_f16 v56, v85, v3, -v119
	ds_read_u16 v1, v40 offset:2000
	ds_read_u16 v85, v40 offset:2250
	ds_read_u16 v96, v40 offset:2500
	ds_read_u16 v111, v40
	v_fmac_f16_e32 v2, v105, v3
	s_waitcnt vmcnt(4) lgkmcnt(16)
	v_mul_f16_sdwa v3, v106, v9 dst_sel:DWORD dst_unused:UNUSED_PAD src0_sel:DWORD src1_sel:WORD_1
	v_mul_f16_sdwa v120, v81, v9 dst_sel:DWORD dst_unused:UNUSED_PAD src0_sel:DWORD src1_sel:WORD_1
	;; [unrolled: 1-line block ×3, first 2 shown]
	s_waitcnt lgkmcnt(14)
	v_mul_f16_sdwa v119, v0, v8 dst_sel:DWORD dst_unused:UNUSED_PAD src0_sel:DWORD src1_sel:WORD_1
	s_waitcnt lgkmcnt(13)
	v_mul_f16_sdwa v121, v103, v10 dst_sel:DWORD dst_unused:UNUSED_PAD src0_sel:DWORD src1_sel:WORD_1
	v_fma_f16 v81, v81, v9, -v3
	v_fmac_f16_e32 v120, v106, v9
	v_fmac_f16_e32 v122, v103, v10
	v_fma_f16 v105, v80, v8, -v119
	v_mul_f16_sdwa v119, v80, v8 dst_sel:DWORD dst_unused:UNUSED_PAD src0_sel:DWORD src1_sel:WORD_1
	ds_read_u16 v80, v40 offset:3500
	v_mul_f16_sdwa v103, v83, v11 dst_sel:DWORD dst_unused:UNUSED_PAD src0_sel:DWORD src1_sel:WORD_1
	v_fma_f16 v82, v82, v10, -v121
	s_waitcnt vmcnt(3) lgkmcnt(4)
	v_mul_f16_sdwa v3, v1, v4 dst_sel:DWORD dst_unused:UNUSED_PAD src0_sel:DWORD src1_sel:WORD_1
	v_fmac_f16_e32 v119, v0, v8
	ds_read_u16 v8, v40 offset:3750
	v_mul_f16_sdwa v106, v78, v4 dst_sel:DWORD dst_unused:UNUSED_PAD src0_sel:DWORD src1_sel:WORD_1
	v_mul_f16_sdwa v0, v113, v11 dst_sel:DWORD dst_unused:UNUSED_PAD src0_sel:DWORD src1_sel:WORD_1
	v_fmac_f16_e32 v103, v113, v11
	v_fma_f16 v113, v78, v4, -v3
	v_mul_f16_sdwa v123, v74, v6 dst_sel:DWORD dst_unused:UNUSED_PAD src0_sel:DWORD src1_sel:WORD_1
	v_fmac_f16_e32 v106, v1, v4
	v_mul_f16_sdwa v4, v114, v7 dst_sel:DWORD dst_unused:UNUSED_PAD src0_sel:DWORD src1_sel:WORD_1
	v_fma_f16 v83, v83, v11, -v0
	ds_read_u16 v0, v40 offset:4000
	v_mul_f16_sdwa v3, v108, v6 dst_sel:DWORD dst_unused:UNUSED_PAD src0_sel:DWORD src1_sel:WORD_1
	v_fmac_f16_e32 v123, v108, v6
	v_fma_f16 v108, v79, v7, -v4
	ds_read_u16 v4, v40 offset:5500
	v_mul_f16_sdwa v126, v79, v7 dst_sel:DWORD dst_unused:UNUSED_PAD src0_sel:DWORD src1_sel:WORD_1
	s_waitcnt lgkmcnt(3)
	v_mul_f16_sdwa v1, v80, v5 dst_sel:DWORD dst_unused:UNUSED_PAD src0_sel:DWORD src1_sel:WORD_1
	v_fma_f16 v125, v74, v6, -v3
	s_waitcnt vmcnt(2)
	v_mul_f16_sdwa v78, v73, v12 dst_sel:DWORD dst_unused:UNUSED_PAD src0_sel:DWORD src1_sel:WORD_1
	v_mul_f16_sdwa v121, v77, v5 dst_sel:DWORD dst_unused:UNUSED_PAD src0_sel:DWORD src1_sel:WORD_1
	v_fmac_f16_e32 v126, v114, v7
	v_fma_f16 v124, v77, v5, -v1
	v_mul_f16_sdwa v1, v85, v12 dst_sel:DWORD dst_unused:UNUSED_PAD src0_sel:DWORD src1_sel:WORD_1
	s_waitcnt lgkmcnt(2)
	v_mul_f16_sdwa v3, v8, v13 dst_sel:DWORD dst_unused:UNUSED_PAD src0_sel:DWORD src1_sel:WORD_1
	v_fmac_f16_e32 v78, v85, v12
	v_mul_f16_sdwa v79, v69, v14 dst_sel:DWORD dst_unused:UNUSED_PAD src0_sel:DWORD src1_sel:WORD_1
	v_fmac_f16_e32 v121, v80, v5
	v_fma_f16 v114, v73, v12, -v1
	v_fma_f16 v85, v75, v13, -v3
	v_mul_f16_sdwa v1, v109, v14 dst_sel:DWORD dst_unused:UNUSED_PAD src0_sel:DWORD src1_sel:WORD_1
	v_mul_f16_sdwa v3, v115, v15 dst_sel:DWORD dst_unused:UNUSED_PAD src0_sel:DWORD src1_sel:WORD_1
	;; [unrolled: 1-line block ×3, first 2 shown]
	v_fmac_f16_e32 v79, v109, v14
	v_mul_f16_sdwa v77, v76, v15 dst_sel:DWORD dst_unused:UNUSED_PAD src0_sel:DWORD src1_sel:WORD_1
	v_fma_f16 v127, v69, v14, -v1
	s_waitcnt vmcnt(1)
	v_mul_f16_sdwa v1, v96, v20 dst_sel:DWORD dst_unused:UNUSED_PAD src0_sel:DWORD src1_sel:WORD_1
	v_fma_f16 v109, v76, v15, -v3
	s_waitcnt lgkmcnt(0)
	v_mul_f16_sdwa v3, v4, v22 dst_sel:DWORD dst_unused:UNUSED_PAD src0_sel:DWORD src1_sel:WORD_1
	v_mul_f16_sdwa v69, v65, v22 dst_sel:DWORD dst_unused:UNUSED_PAD src0_sel:DWORD src1_sel:WORD_1
	v_fmac_f16_e32 v80, v8, v13
	v_fma_f16 v74, v70, v20, -v1
	v_mul_f16_sdwa v1, v0, v21 dst_sel:DWORD dst_unused:UNUSED_PAD src0_sel:DWORD src1_sel:WORD_1
	v_fma_f16 v76, v65, v22, -v3
	v_fmac_f16_e32 v69, v4, v22
	s_waitcnt vmcnt(0)
	v_mul_f16_sdwa v3, v107, v16 dst_sel:DWORD dst_unused:UNUSED_PAD src0_sel:DWORD src1_sel:WORD_1
	v_mul_f16_sdwa v4, v117, v19 dst_sel:DWORD dst_unused:UNUSED_PAD src0_sel:DWORD src1_sel:WORD_1
	v_add_f16_e32 v8, v87, v84
	v_fma_f16 v75, v66, v21, -v1
	v_mul_f16_sdwa v1, v67, v16 dst_sel:DWORD dst_unused:UNUSED_PAD src0_sel:DWORD src1_sel:WORD_1
	v_fma_f16 v7, v67, v16, -v3
	v_fma_f16 v67, v64, v19, -v4
	v_fma_f16 v4, -0.5, v8, v63
	v_sub_f16_e32 v8, v104, v2
	v_sub_f16_e32 v9, v86, v87
	;; [unrolled: 1-line block ×3, first 2 shown]
	v_add_f16_e32 v11, v86, v56
	v_mul_f16_sdwa v73, v70, v20 dst_sel:DWORD dst_unused:UNUSED_PAD src0_sel:DWORD src1_sel:WORD_1
	v_mul_f16_sdwa v70, v66, v21 dst_sel:DWORD dst_unused:UNUSED_PAD src0_sel:DWORD src1_sel:WORD_1
	v_fmamk_f16 v12, v8, 0x3b9c, v4
	v_sub_f16_e32 v13, v97, v112
	v_add_f16_e32 v9, v9, v10
	v_add_f16_e32 v10, v63, v86
	v_fmac_f16_e32 v63, -0.5, v11
	v_fmac_f16_e32 v4, 0xbb9c, v8
	v_fmac_f16_e32 v77, v115, v15
	;; [unrolled: 1-line block ×3, first 2 shown]
	v_mul_f16_sdwa v0, v116, v23 dst_sel:DWORD dst_unused:UNUSED_PAD src0_sel:DWORD src1_sel:WORD_1
	v_fmac_f16_e32 v12, 0x38b4, v13
	v_sub_f16_e32 v11, v87, v86
	v_sub_f16_e32 v14, v84, v56
	v_fmamk_f16 v15, v13, 0xbb9c, v63
	v_fmac_f16_e32 v63, 0x3b9c, v13
	v_fmac_f16_e32 v4, 0xb8b4, v13
	v_mul_f16_sdwa v66, v72, v23 dst_sel:DWORD dst_unused:UNUSED_PAD src0_sel:DWORD src1_sel:WORD_1
	v_fma_f16 v72, v72, v23, -v0
	v_mul_f16_sdwa v0, v110, v17 dst_sel:DWORD dst_unused:UNUSED_PAD src0_sel:DWORD src1_sel:WORD_1
	v_add_f16_e32 v10, v10, v87
	v_add_f16_e32 v11, v11, v14
	v_fmac_f16_e32 v15, 0x38b4, v8
	v_fmac_f16_e32 v63, 0xb8b4, v8
	;; [unrolled: 1-line block ×4, first 2 shown]
	v_add_f16_e32 v9, v97, v112
	v_fmac_f16_e32 v1, v107, v16
	v_mul_f16_sdwa v5, v68, v17 dst_sel:DWORD dst_unused:UNUSED_PAD src0_sel:DWORD src1_sel:WORD_1
	v_fma_f16 v6, v68, v17, -v0
	v_mul_f16_sdwa v3, v118, v18 dst_sel:DWORD dst_unused:UNUSED_PAD src0_sel:DWORD src1_sel:WORD_1
	v_add_f16_e32 v8, v10, v84
	v_fmac_f16_e32 v15, 0x34f2, v11
	v_fmac_f16_e32 v63, 0x34f2, v11
	v_sub_f16_e32 v10, v86, v56
	v_sub_f16_e32 v11, v104, v97
	;; [unrolled: 1-line block ×3, first 2 shown]
	v_fma_f16 v68, -0.5, v9, v111
	v_add_f16_e32 v14, v104, v2
	v_add_f16_e32 v16, v111, v104
	v_mul_f16_sdwa v0, v71, v18 dst_sel:DWORD dst_unused:UNUSED_PAD src0_sel:DWORD src1_sel:WORD_1
	v_fma_f16 v65, v71, v18, -v3
	v_sub_f16_e32 v9, v87, v84
	v_add_f16_e32 v11, v11, v13
	v_fmamk_f16 v71, v10, 0xbb9c, v68
	v_fmac_f16_e32 v68, 0x3b9c, v10
	v_fmac_f16_e32 v111, -0.5, v14
	v_add_f16_e32 v13, v16, v97
	v_sub_f16_e32 v14, v97, v104
	v_fmac_f16_e32 v71, 0xb8b4, v9
	v_fmac_f16_e32 v68, 0x38b4, v9
	v_fmamk_f16 v84, v9, 0x3b9c, v111
	v_fmac_f16_e32 v111, 0xbb9c, v9
	v_add_f16_e32 v9, v13, v112
	v_add_f16_e32 v13, v81, v82
	v_sub_f16_e32 v16, v112, v2
	v_fmac_f16_e32 v84, 0xb8b4, v10
	v_fmac_f16_e32 v111, 0x38b4, v10
	v_add_f16_e32 v86, v9, v2
	v_fma_f16 v2, -0.5, v13, v62
	v_sub_f16_e32 v9, v119, v103
	v_sub_f16_e32 v10, v105, v81
	;; [unrolled: 1-line block ×3, first 2 shown]
	v_add_f16_e32 v14, v14, v16
	v_fmac_f16_e32 v71, 0x34f2, v11
	v_fmac_f16_e32 v68, 0x34f2, v11
	v_fmamk_f16 v11, v9, 0x3b9c, v2
	v_sub_f16_e32 v16, v120, v122
	v_add_f16_e32 v10, v10, v13
	v_add_f16_e32 v13, v105, v83
	v_fmac_f16_e32 v2, 0xbb9c, v9
	v_fmac_f16_e32 v84, 0x34f2, v14
	;; [unrolled: 1-line block ×4, first 2 shown]
	v_add_f16_e32 v14, v62, v105
	v_fmac_f16_e32 v62, -0.5, v13
	v_fmac_f16_e32 v2, 0xb8b4, v16
	v_fmac_f16_e32 v5, v110, v17
	;; [unrolled: 1-line block ×3, first 2 shown]
	v_mul_f16_sdwa v3, v64, v19 dst_sel:DWORD dst_unused:UNUSED_PAD src0_sel:DWORD src1_sel:WORD_1
	v_fmac_f16_e32 v11, 0x34f2, v10
	v_sub_f16_e32 v13, v81, v105
	v_sub_f16_e32 v17, v82, v83
	v_fmamk_f16 v18, v16, 0xbb9c, v62
	v_fmac_f16_e32 v2, 0x34f2, v10
	v_fmac_f16_e32 v62, 0x3b9c, v16
	v_add_f16_e32 v10, v124, v125
	v_fmac_f16_e32 v3, v117, v19
	v_add_f16_e32 v13, v13, v17
	v_fmac_f16_e32 v18, 0x38b4, v9
	v_sub_f16_e32 v16, v113, v124
	v_sub_f16_e32 v17, v108, v125
	v_fma_f16 v10, -0.5, v10, v61
	v_sub_f16_e32 v19, v106, v126
	v_fmac_f16_e32 v62, 0xb8b4, v9
	v_add_f16_e32 v9, v113, v108
	v_fmac_f16_e32 v73, v96, v20
	v_add_f16_e32 v16, v16, v17
	v_add_f16_e32 v17, v61, v113
	v_fmamk_f16 v20, v19, 0x3b9c, v10
	v_sub_f16_e32 v21, v121, v123
	v_fmac_f16_e32 v61, -0.5, v9
	v_fmac_f16_e32 v10, 0xbb9c, v19
	v_fmac_f16_e32 v66, v116, v23
	v_sub_f16_e32 v9, v124, v113
	v_sub_f16_e32 v22, v125, v108
	v_fmac_f16_e32 v20, 0x38b4, v21
	v_fmamk_f16 v23, v21, 0xbb9c, v61
	v_fmac_f16_e32 v61, 0x3b9c, v21
	v_fmac_f16_e32 v10, 0xb8b4, v21
	v_add_f16_e32 v21, v85, v127
	v_add_f16_e32 v9, v9, v22
	v_fmac_f16_e32 v18, 0x34f2, v13
	v_fmac_f16_e32 v62, 0x34f2, v13
	v_sub_f16_e32 v22, v109, v127
	v_fma_f16 v13, -0.5, v21, v60
	v_sub_f16_e32 v21, v114, v85
	v_fmac_f16_e32 v23, 0x38b4, v19
	v_fmac_f16_e32 v61, 0xb8b4, v19
	v_sub_f16_e32 v19, v78, v77
	v_add_f16_e32 v8, v8, v56
	v_add_f16_e32 v21, v21, v22
	;; [unrolled: 1-line block ×3, first 2 shown]
	v_fmac_f16_e32 v20, 0x34f2, v16
	v_fmac_f16_e32 v10, 0x34f2, v16
	v_fmamk_f16 v16, v19, 0x3b9c, v13
	v_sub_f16_e32 v56, v80, v79
	v_fmac_f16_e32 v23, 0x34f2, v9
	v_fmac_f16_e32 v13, 0xbb9c, v19
	;; [unrolled: 1-line block ×3, first 2 shown]
	v_add_f16_e32 v9, v60, v114
	v_fmac_f16_e32 v60, -0.5, v22
	v_fmac_f16_e32 v16, 0x38b4, v56
	v_fmac_f16_e32 v13, 0xb8b4, v56
	v_sub_f16_e32 v22, v85, v114
	v_sub_f16_e32 v64, v127, v109
	v_fmamk_f16 v87, v56, 0xbb9c, v60
	v_fmac_f16_e32 v60, 0x3b9c, v56
	v_add_f16_e32 v56, v75, v76
	v_fmac_f16_e32 v16, 0x34f2, v21
	v_fmac_f16_e32 v13, 0x34f2, v21
	v_add_f16_e32 v21, v22, v64
	v_fmac_f16_e32 v87, 0x38b4, v19
	v_fmac_f16_e32 v60, 0xb8b4, v19
	v_fma_f16 v19, -0.5, v56, v59
	v_add_f16_e32 v22, v74, v72
	v_sub_f16_e32 v56, v73, v66
	v_sub_f16_e32 v64, v74, v75
	;; [unrolled: 1-line block ×3, first 2 shown]
	v_add_f16_e32 v97, v59, v74
	v_fmac_f16_e32 v59, -0.5, v22
	v_fmamk_f16 v22, v56, 0x3b9c, v19
	v_sub_f16_e32 v104, v70, v69
	v_fmac_f16_e32 v19, 0xbb9c, v56
	v_add_f16_e32 v64, v64, v96
	v_sub_f16_e32 v96, v75, v74
	v_sub_f16_e32 v107, v76, v72
	v_fmamk_f16 v110, v104, 0xbb9c, v59
	v_fmac_f16_e32 v59, 0x3b9c, v104
	v_fmac_f16_e32 v22, 0x38b4, v104
	;; [unrolled: 1-line block ×5, first 2 shown]
	v_add_f16_e32 v21, v6, v65
	v_add_f16_e32 v96, v96, v107
	v_fmac_f16_e32 v110, 0x38b4, v56
	v_fmac_f16_e32 v59, 0xb8b4, v56
	;; [unrolled: 1-line block ×4, first 2 shown]
	v_sub_f16_e32 v56, v7, v6
	v_sub_f16_e32 v64, v67, v65
	v_add_f16_e32 v104, v7, v67
	v_fma_f16 v21, -0.5, v21, v58
	v_sub_f16_e32 v107, v1, v3
	v_fmac_f16_e32 v110, 0x34f2, v96
	v_fmac_f16_e32 v59, 0x34f2, v96
	v_add_f16_e32 v56, v56, v64
	v_add_f16_e32 v64, v58, v7
	v_fmac_f16_e32 v58, -0.5, v104
	v_fmamk_f16 v96, v107, 0x3b9c, v21
	v_sub_f16_e32 v104, v5, v0
	v_fmac_f16_e32 v21, 0xbb9c, v107
	v_add_f16_e32 v14, v14, v81
	s_barrier
	v_fmac_f16_e32 v96, 0x38b4, v104
	v_fmac_f16_e32 v21, 0xb8b4, v104
	v_add_f16_e32 v14, v14, v82
	buffer_gl0_inv
	v_add_f16_e32 v9, v9, v85
	v_fmac_f16_e32 v96, 0x34f2, v56
	v_fmac_f16_e32 v21, 0x34f2, v56
	v_fmamk_f16 v56, v104, 0xbb9c, v58
	v_fmac_f16_e32 v58, 0x3b9c, v104
	v_add_f16_e32 v9, v9, v127
	v_sub_f16_e32 v104, v6, v7
	v_sub_f16_e32 v112, v65, v67
	v_fmac_f16_e32 v56, 0x38b4, v107
	v_fmac_f16_e32 v58, 0xb8b4, v107
	v_mov_b32_e32 v107, 0x96
	v_sub_f16_e32 v85, v85, v127
	v_add_f16_e32 v104, v104, v112
	v_sub_f16_e32 v7, v7, v67
	v_mul_u32_u24_sdwa v57, v57, v107 dst_sel:DWORD dst_unused:UNUSED_PAD src0_sel:WORD_0 src1_sel:DWORD
	v_fmac_f16_e32 v56, 0x34f2, v104
	v_fmac_f16_e32 v58, 0x34f2, v104
	v_add3_u32 v88, 0, v57, v88
	v_mul_u32_u24_sdwa v57, v89, v107 dst_sel:DWORD dst_unused:UNUSED_PAD src0_sel:WORD_0 src1_sel:DWORD
	v_lshlrev_b32_sdwa v89, v51, v90 dst_sel:DWORD dst_unused:UNUSED_PAD src0_sel:DWORD src1_sel:BYTE_0
	ds_write_b16 v88, v8
	ds_write_b16 v88, v12 offset:30
	v_add_f16_e32 v8, v14, v83
	v_add3_u32 v89, 0, v57, v89
	ds_write_b16 v88, v15 offset:60
	ds_write_b16 v88, v63 offset:90
	;; [unrolled: 1-line block ×3, first 2 shown]
	v_add_f16_e32 v4, v17, v124
	ds_write_b16 v89, v8
	ds_write_b16 v89, v11 offset:30
	v_mul_u32_u24_e32 v8, 0x96, v92
	v_lshlrev_b32_sdwa v11, v51, v93 dst_sel:DWORD dst_unused:UNUSED_PAD src0_sel:DWORD src1_sel:WORD_0
	v_add_f16_e32 v4, v4, v125
	ds_write_b16 v89, v18 offset:60
	ds_write_b16 v89, v62 offset:90
	v_sub_f16_e32 v83, v105, v83
	v_add3_u32 v90, 0, v8, v11
	v_add_f16_e32 v4, v4, v108
	v_mul_u32_u24_e32 v8, 0x96, v91
	v_lshlrev_b32_sdwa v11, v51, v53 dst_sel:DWORD dst_unused:UNUSED_PAD src0_sel:DWORD src1_sel:WORD_0
	ds_write_b16 v89, v2 offset:120
	ds_write_b16 v90, v4
	ds_write_b16 v90, v20 offset:30
	v_add_f16_e32 v4, v97, v75
	v_add_f16_e32 v2, v9, v109
	v_add3_u32 v91, 0, v8, v11
	ds_write_b16 v90, v23 offset:60
	ds_write_b16 v90, v61 offset:90
	;; [unrolled: 1-line block ×3, first 2 shown]
	ds_write_b16 v91, v2
	v_mul_u32_u24_e32 v2, 0x96, v94
	v_lshlrev_b32_sdwa v8, v51, v54 dst_sel:DWORD dst_unused:UNUSED_PAD src0_sel:DWORD src1_sel:WORD_0
	v_add_f16_e32 v4, v4, v76
	v_add_f16_e32 v9, v64, v6
	ds_write_b16 v91, v16 offset:30
	ds_write_b16 v91, v87 offset:60
	v_sub_f16_e32 v75, v75, v76
	v_add3_u32 v87, 0, v2, v8
	v_add_f16_e32 v2, v4, v72
	v_mul_u32_u24_e32 v4, 0x96, v95
	v_lshlrev_b32_sdwa v8, v51, v55 dst_sel:DWORD dst_unused:UNUSED_PAD src0_sel:DWORD src1_sel:WORD_0
	v_add_f16_e32 v9, v9, v65
	ds_write_b16 v91, v60 offset:90
	ds_write_b16 v91, v13 offset:120
	ds_write_b16 v87, v2
	v_sub_f16_e32 v72, v74, v72
	v_sub_f16_e32 v74, v73, v70
	v_add3_u32 v92, 0, v4, v8
	v_add_f16_e32 v2, v9, v67
	ds_write_b16 v87, v22 offset:30
	ds_write_b16 v87, v110 offset:60
	ds_write_b16 v87, v59 offset:90
	ds_write_b16 v87, v19 offset:120
	ds_write_b16 v92, v2
	ds_write_b16 v92, v96 offset:30
	ds_write_b16 v92, v56 offset:60
	;; [unrolled: 1-line block ×3, first 2 shown]
	v_lshl_add_u32 v8, v50, 1, 0
	v_sub_f16_e32 v67, v1, v5
	ds_write_b16 v92, v21 offset:120
	s_waitcnt lgkmcnt(0)
	s_barrier
	buffer_gl0_inv
	ds_read_u16 v9, v40
	ds_read_u16 v50, v40 offset:1000
	ds_read_u16 v17, v40 offset:3250
	;; [unrolled: 1-line block ×4, first 2 shown]
	ds_read_u16 v61, v8
	ds_read_u16 v12, v36
	;; [unrolled: 1-line block ×3, first 2 shown]
	ds_read_u16 v63, v40 offset:3000
	ds_read_u16 v13, v40 offset:2750
	;; [unrolled: 1-line block ×19, first 2 shown]
	ds_read_u16 v4, v32
	ds_read_u16 v64, v30
	ds_read_u16 v20, v40 offset:7250
	s_waitcnt lgkmcnt(0)
	s_barrier
	buffer_gl0_inv
	ds_write_b16 v88, v86
	ds_write_b16 v88, v71 offset:30
	ds_write_b16 v88, v84 offset:60
	;; [unrolled: 1-line block ×3, first 2 shown]
	v_add_f16_e32 v71, v120, v122
	v_add_f16_e32 v84, v119, v103
	;; [unrolled: 1-line block ×3, first 2 shown]
	ds_write_b16 v88, v68 offset:120
	v_sub_f16_e32 v68, v81, v82
	v_fma_f16 v71, -0.5, v71, v102
	v_fmac_f16_e32 v102, -0.5, v84
	v_sub_f16_e32 v82, v119, v120
	v_sub_f16_e32 v84, v103, v122
	v_add_f16_e32 v81, v86, v120
	v_sub_f16_e32 v86, v120, v119
	v_sub_f16_e32 v88, v122, v103
	v_fmamk_f16 v93, v68, 0x3b9c, v102
	v_add_f16_e32 v82, v82, v84
	v_fmamk_f16 v84, v83, 0xbb9c, v71
	v_fmac_f16_e32 v102, 0xbb9c, v68
	v_add_f16_e32 v81, v81, v122
	v_fmac_f16_e32 v71, 0x3b9c, v83
	v_add_f16_e32 v86, v86, v88
	v_fmac_f16_e32 v84, 0xb8b4, v68
	v_fmac_f16_e32 v93, 0xb8b4, v83
	;; [unrolled: 1-line block ×4, first 2 shown]
	v_add_f16_e32 v68, v81, v103
	v_fmac_f16_e32 v84, 0x34f2, v82
	v_fmac_f16_e32 v93, 0x34f2, v86
	;; [unrolled: 1-line block ×4, first 2 shown]
	ds_write_b16 v89, v68
	ds_write_b16 v89, v84 offset:30
	ds_write_b16 v89, v93 offset:60
	;; [unrolled: 1-line block ×3, first 2 shown]
	v_add_f16_e32 v68, v121, v123
	v_add_f16_e32 v81, v106, v126
	;; [unrolled: 1-line block ×3, first 2 shown]
	v_sub_f16_e32 v83, v126, v123
	v_sub_f16_e32 v84, v113, v108
	v_fma_f16 v68, -0.5, v68, v101
	v_fmac_f16_e32 v101, -0.5, v81
	v_add_f16_e32 v81, v82, v121
	v_sub_f16_e32 v82, v106, v121
	ds_write_b16 v89, v71 offset:120
	v_sub_f16_e32 v71, v124, v125
	v_sub_f16_e32 v86, v121, v106
	;; [unrolled: 1-line block ×3, first 2 shown]
	v_add_f16_e32 v82, v82, v83
	v_fmamk_f16 v83, v84, 0xbb9c, v68
	v_fmamk_f16 v89, v71, 0x3b9c, v101
	v_fmac_f16_e32 v101, 0xbb9c, v71
	v_add_f16_e32 v81, v81, v123
	v_fmac_f16_e32 v68, 0x3b9c, v84
	v_fmac_f16_e32 v83, 0xb8b4, v71
	v_add_f16_e32 v86, v86, v88
	v_fmac_f16_e32 v89, 0xb8b4, v84
	v_fmac_f16_e32 v101, 0x38b4, v84
	;; [unrolled: 1-line block ×3, first 2 shown]
	v_add_f16_e32 v71, v81, v126
	v_fmac_f16_e32 v83, 0x34f2, v82
	v_fmac_f16_e32 v89, 0x34f2, v86
	;; [unrolled: 1-line block ×3, first 2 shown]
	ds_write_b16 v90, v71
	ds_write_b16 v90, v83 offset:30
	ds_write_b16 v90, v89 offset:60
	;; [unrolled: 1-line block ×3, first 2 shown]
	v_add_f16_e32 v71, v80, v79
	v_add_f16_e32 v83, v78, v77
	;; [unrolled: 1-line block ×3, first 2 shown]
	v_fmac_f16_e32 v68, 0x34f2, v82
	v_sub_f16_e32 v81, v78, v80
	v_fma_f16 v71, -0.5, v71, v100
	v_fmac_f16_e32 v100, -0.5, v83
	v_add_f16_e32 v83, v84, v80
	ds_write_b16 v90, v68 offset:120
	v_sub_f16_e32 v68, v114, v109
	v_sub_f16_e32 v82, v77, v79
	;; [unrolled: 1-line block ×4, first 2 shown]
	v_fmamk_f16 v84, v85, 0x3b9c, v100
	v_fmac_f16_e32 v100, 0xbb9c, v85
	v_add_f16_e32 v79, v83, v79
	v_add_f16_e32 v81, v81, v82
	v_fmamk_f16 v82, v68, 0xbb9c, v71
	v_fmac_f16_e32 v71, 0x3b9c, v68
	v_add_f16_e32 v78, v78, v80
	v_fmac_f16_e32 v84, 0xb8b4, v68
	v_fmac_f16_e32 v100, 0x38b4, v68
	v_add_f16_e32 v68, v79, v77
	v_add_f16_e32 v77, v70, v69
	;; [unrolled: 1-line block ×3, first 2 shown]
	v_fmac_f16_e32 v84, 0x34f2, v78
	v_fmac_f16_e32 v100, 0x34f2, v78
	v_sub_f16_e32 v78, v66, v69
	v_fma_f16 v77, -0.5, v77, v99
	v_add_f16_e32 v80, v99, v73
	v_fmac_f16_e32 v99, -0.5, v79
	v_sub_f16_e32 v6, v6, v65
	v_add_f16_e32 v74, v74, v78
	v_fmamk_f16 v76, v72, 0xbb9c, v77
	v_add_f16_e32 v78, v80, v70
	v_sub_f16_e32 v70, v70, v73
	v_sub_f16_e32 v73, v69, v66
	v_fmamk_f16 v79, v75, 0x3b9c, v99
	v_fmac_f16_e32 v99, 0xbb9c, v75
	v_add_f16_e32 v69, v78, v69
	v_fmac_f16_e32 v77, 0x3b9c, v72
	v_add_f16_e32 v70, v70, v73
	v_fmac_f16_e32 v79, 0xb8b4, v72
	v_fmac_f16_e32 v99, 0x38b4, v72
	v_add_f16_e32 v66, v69, v66
	v_add_f16_e32 v69, v5, v0
	v_add_f16_e32 v72, v1, v3
	v_fmac_f16_e32 v79, 0x34f2, v70
	v_fmac_f16_e32 v99, 0x34f2, v70
	v_sub_f16_e32 v70, v3, v0
	v_add_f16_e32 v73, v98, v1
	v_fma_f16 v69, -0.5, v69, v98
	v_fmac_f16_e32 v98, -0.5, v72
	v_sub_f16_e32 v1, v5, v1
	v_add_f16_e32 v65, v67, v70
	v_add_f16_e32 v70, v73, v5
	v_sub_f16_e32 v5, v0, v3
	v_fmamk_f16 v72, v6, 0x3b9c, v98
	v_fmac_f16_e32 v98, 0xbb9c, v6
	v_fmamk_f16 v67, v7, 0xbb9c, v69
	v_add_f16_e32 v0, v70, v0
	v_fmac_f16_e32 v69, 0x3b9c, v7
	v_fmac_f16_e32 v72, 0xb8b4, v7
	v_fmac_f16_e32 v98, 0x38b4, v7
	v_add_f16_e32 v1, v1, v5
	v_add_f16_e32 v7, v0, v3
	v_add_nc_u32_e32 v0, 0xffffffb5, v37
	v_fmac_f16_e32 v67, 0xb8b4, v6
	v_fmac_f16_e32 v69, 0x38b4, v6
	;; [unrolled: 1-line block ×4, first 2 shown]
	v_cndmask_b32_e64 v3, v0, v37, s0
	v_mov_b32_e32 v1, 0
	v_fmac_f16_e32 v76, 0xb8b4, v75
	v_fmac_f16_e32 v77, 0x38b4, v75
	;; [unrolled: 1-line block ×3, first 2 shown]
	v_mul_i32_i24_e32 v0, 9, v3
	v_fmac_f16_e32 v71, 0x38b4, v85
	v_fmac_f16_e32 v76, 0x34f2, v74
	;; [unrolled: 1-line block ×4, first 2 shown]
	v_lshlrev_b64 v[5:6], 2, v[0:1]
	v_fmac_f16_e32 v82, 0x34f2, v81
	v_fmac_f16_e32 v67, 0x34f2, v65
	;; [unrolled: 1-line block ×3, first 2 shown]
	v_mul_lo_u16 v0, 0xdb, v52
	ds_write_b16 v91, v68
	ds_write_b16 v91, v82 offset:30
	v_add_co_u32 v73, s0, s12, v5
	v_add_co_ci_u32_e64 v74, s0, s13, v6, s0
	ds_write_b16 v91, v84 offset:60
	ds_write_b16 v91, v100 offset:90
	;; [unrolled: 1-line block ×3, first 2 shown]
	ds_write_b16 v87, v66
	ds_write_b16 v87, v76 offset:30
	ds_write_b16 v87, v79 offset:60
	;; [unrolled: 1-line block ×4, first 2 shown]
	ds_write_b16 v92, v7
	ds_write_b16 v92, v67 offset:30
	ds_write_b16 v92, v72 offset:60
	;; [unrolled: 1-line block ×4, first 2 shown]
	s_waitcnt lgkmcnt(0)
	s_barrier
	buffer_gl0_inv
	s_clause 0x1
	global_load_dwordx4 v[65:68], v[73:74], off offset:288
	global_load_dwordx4 v[69:72], v[73:74], off offset:304
	v_lshrrev_b16 v0, 14, v0
	v_mov_b32_e32 v6, 0xb4e9
	v_cmp_lt_u32_e64 s0, 0x4a, v37
	v_lshlrev_b32_e32 v3, 1, v3
	v_mul_lo_u16 v5, 0x4b, v0
	v_sub_nc_u16 v7, v48, v5
	v_mov_b32_e32 v48, 9
	v_mul_u32_u24_sdwa v5, v49, v6 dst_sel:DWORD dst_unused:UNUSED_PAD src0_sel:WORD_0 src1_sel:DWORD
	v_mul_u32_u24_sdwa v6, v7, v48 dst_sel:DWORD dst_unused:UNUSED_PAD src0_sel:BYTE_0 src1_sel:DWORD
	v_lshrrev_b32_e32 v5, 16, v5
	v_lshlrev_b32_sdwa v7, v51, v7 dst_sel:DWORD dst_unused:UNUSED_PAD src0_sel:DWORD src1_sel:BYTE_0
	v_lshlrev_b32_e32 v52, 2, v6
	v_sub_nc_u16 v6, v49, v5
	s_clause 0x1
	global_load_dwordx4 v[77:80], v52, s[12:13] offset:288
	global_load_dwordx4 v[81:84], v52, s[12:13] offset:304
	v_lshrrev_b16 v6, 1, v6
	v_add_nc_u16 v5, v6, v5
	v_lshrrev_b16 v5, 6, v5
	v_mul_lo_u16 v6, 0x4b, v5
	v_sub_nc_u16 v6, v49, v6
	v_mul_u32_u24_sdwa v48, v6, v48 dst_sel:DWORD dst_unused:UNUSED_PAD src0_sel:WORD_0 src1_sel:DWORD
	v_lshlrev_b32_sdwa v6, v51, v6 dst_sel:DWORD dst_unused:UNUSED_PAD src0_sel:DWORD src1_sel:WORD_0
	v_lshlrev_b32_e32 v48, 2, v48
	s_clause 0x4
	global_load_dwordx4 v[85:88], v48, s[12:13] offset:288
	global_load_dwordx4 v[89:92], v48, s[12:13] offset:304
	global_load_dword v93, v[73:74], off offset:320
	global_load_dword v94, v52, s[12:13] offset:320
	global_load_dword v95, v48, s[12:13] offset:320
	ds_read_u16 v52, v36
	ds_read_u16 v73, v30
	;; [unrolled: 1-line block ×3, first 2 shown]
	ds_read_u16 v75, v40 offset:3000
	ds_read_u16 v8, v34
	s_waitcnt vmcnt(8) lgkmcnt(4)
	v_mul_f16_sdwa v48, v52, v65 dst_sel:DWORD dst_unused:UNUSED_PAD src0_sel:DWORD src1_sel:WORD_1
	v_mul_f16_sdwa v49, v12, v65 dst_sel:DWORD dst_unused:UNUSED_PAD src0_sel:DWORD src1_sel:WORD_1
	s_waitcnt lgkmcnt(3)
	v_mul_f16_sdwa v76, v73, v66 dst_sel:DWORD dst_unused:UNUSED_PAD src0_sel:DWORD src1_sel:WORD_1
	v_mul_f16_sdwa v98, v61, v67 dst_sel:DWORD dst_unused:UNUSED_PAD src0_sel:DWORD src1_sel:WORD_1
	s_waitcnt lgkmcnt(1)
	v_mul_f16_sdwa v100, v75, v68 dst_sel:DWORD dst_unused:UNUSED_PAD src0_sel:DWORD src1_sel:WORD_1
	v_fma_f16 v48, v12, v65, -v48
	ds_read_u16 v12, v32
	ds_read_u16 v96, v40 offset:7250
	v_fmac_f16_e32 v49, v52, v65
	ds_read_u16 v52, v40 offset:3750
	ds_read_u16 v97, v40 offset:4500
	v_mul_f16_sdwa v65, v64, v66 dst_sel:DWORD dst_unused:UNUSED_PAD src0_sel:DWORD src1_sel:WORD_1
	v_fma_f16 v64, v64, v66, -v76
	v_mul_f16_sdwa v76, v74, v67 dst_sel:DWORD dst_unused:UNUSED_PAD src0_sel:DWORD src1_sel:WORD_1
	v_mul_f16_sdwa v101, v63, v68 dst_sel:DWORD dst_unused:UNUSED_PAD src0_sel:DWORD src1_sel:WORD_1
	ds_read_u16 v99, v40 offset:2750
	v_fmac_f16_e32 v65, v73, v66
	v_fmac_f16_e32 v98, v74, v67
	v_fma_f16 v61, v61, v67, -v76
	v_fma_f16 v63, v63, v68, -v100
	v_fmac_f16_e32 v101, v75, v68
	ds_read_u16 v66, v40 offset:4000
	ds_read_u16 v67, v40 offset:4750
	;; [unrolled: 1-line block ×8, first 2 shown]
	s_waitcnt vmcnt(7)
	v_mul_f16_sdwa v103, v62, v69 dst_sel:DWORD dst_unused:UNUSED_PAD src0_sel:DWORD src1_sel:WORD_1
	v_mul_f16_sdwa v104, v60, v70 dst_sel:DWORD dst_unused:UNUSED_PAD src0_sel:DWORD src1_sel:WORD_1
	;; [unrolled: 1-line block ×4, first 2 shown]
	s_waitcnt lgkmcnt(10)
	v_mul_f16_sdwa v75, v52, v69 dst_sel:DWORD dst_unused:UNUSED_PAD src0_sel:DWORD src1_sel:WORD_1
	s_waitcnt lgkmcnt(9)
	v_mul_f16_sdwa v76, v97, v70 dst_sel:DWORD dst_unused:UNUSED_PAD src0_sel:DWORD src1_sel:WORD_1
	v_fmac_f16_e32 v103, v52, v69
	v_fmac_f16_e32 v104, v97, v70
	s_waitcnt vmcnt(6)
	v_mul_f16_sdwa v118, v17, v80 dst_sel:DWORD dst_unused:UNUSED_PAD src0_sel:DWORD src1_sel:WORD_1
	v_fma_f16 v62, v62, v69, -v75
	v_fma_f16 v69, v60, v70, -v76
	ds_read_u16 v52, v40 offset:5500
	ds_read_u16 v60, v40 offset:1750
	ds_read_u16 v70, v40 offset:2500
	ds_read_u16 v97, v40 offset:6250
	ds_read_u16 v106, v40 offset:6500
	ds_read_u16 v107, v40 offset:7000
	ds_read_u16 v108, v40 offset:6750
	ds_read_u16 v109, v40 offset:5750
	ds_read_u16 v111, v40 offset:3250
	ds_read_u16 v113, v40 offset:2000
	ds_read_u16 v114, v40 offset:1250
	ds_read_u16 v115, v40
	s_waitcnt lgkmcnt(16)
	v_mul_f16_sdwa v75, v73, v71 dst_sel:DWORD dst_unused:UNUSED_PAD src0_sel:DWORD src1_sel:WORD_1
	s_waitcnt lgkmcnt(14)
	v_mul_f16_sdwa v76, v74, v72 dst_sel:DWORD dst_unused:UNUSED_PAD src0_sel:DWORD src1_sel:WORD_1
	v_fmac_f16_e32 v110, v73, v71
	s_waitcnt lgkmcnt(12)
	v_mul_f16_sdwa v116, v105, v77 dst_sel:DWORD dst_unused:UNUSED_PAD src0_sel:DWORD src1_sel:WORD_1
	v_fmac_f16_e32 v112, v74, v72
	v_mul_f16_sdwa v74, v50, v77 dst_sel:DWORD dst_unused:UNUSED_PAD src0_sel:DWORD src1_sel:WORD_1
	v_fma_f16 v117, v56, v71, -v75
	v_fma_f16 v71, v59, v72, -v76
	;; [unrolled: 1-line block ×3, first 2 shown]
	v_mul_f16_sdwa v116, v58, v78 dst_sel:DWORD dst_unused:UNUSED_PAD src0_sel:DWORD src1_sel:WORD_1
	v_fmac_f16_e32 v74, v105, v77
	s_waitcnt lgkmcnt(10)
	v_mul_f16_sdwa v50, v60, v78 dst_sel:DWORD dst_unused:UNUSED_PAD src0_sel:DWORD src1_sel:WORD_1
	s_waitcnt lgkmcnt(9)
	v_mul_f16_sdwa v56, v70, v79 dst_sel:DWORD dst_unused:UNUSED_PAD src0_sel:DWORD src1_sel:WORD_1
	v_mul_f16_sdwa v75, v55, v79 dst_sel:DWORD dst_unused:UNUSED_PAD src0_sel:DWORD src1_sel:WORD_1
	v_fmac_f16_e32 v116, v60, v78
	s_waitcnt vmcnt(5)
	v_mul_f16_sdwa v76, v57, v81 dst_sel:DWORD dst_unused:UNUSED_PAD src0_sel:DWORD src1_sel:WORD_1
	v_fma_f16 v105, v58, v78, -v50
	v_fma_f16 v78, v55, v79, -v56
	s_waitcnt lgkmcnt(3)
	v_mul_f16_sdwa v50, v111, v80 dst_sel:DWORD dst_unused:UNUSED_PAD src0_sel:DWORD src1_sel:WORD_1
	v_mul_f16_sdwa v55, v66, v81 dst_sel:DWORD dst_unused:UNUSED_PAD src0_sel:DWORD src1_sel:WORD_1
	;; [unrolled: 1-line block ×3, first 2 shown]
	v_fmac_f16_e32 v75, v70, v79
	v_fmac_f16_e32 v118, v111, v80
	v_fma_f16 v119, v17, v80, -v50
	v_mul_f16_sdwa v17, v52, v83 dst_sel:DWORD dst_unused:UNUSED_PAD src0_sel:DWORD src1_sel:WORD_1
	v_fma_f16 v79, v57, v81, -v55
	v_fmac_f16_e32 v76, v66, v81
	v_fma_f16 v111, v53, v82, -v56
	v_mul_f16_sdwa v120, v53, v82 dst_sel:DWORD dst_unused:UNUSED_PAD src0_sel:DWORD src1_sel:WORD_1
	v_fma_f16 v81, v10, v83, -v17
	s_waitcnt vmcnt(4) lgkmcnt(1)
	v_mul_f16_sdwa v17, v114, v85 dst_sel:DWORD dst_unused:UNUSED_PAD src0_sel:DWORD src1_sel:WORD_1
	v_mul_f16_sdwa v53, v99, v87 dst_sel:DWORD dst_unused:UNUSED_PAD src0_sel:DWORD src1_sel:WORD_1
	;; [unrolled: 1-line block ×5, first 2 shown]
	v_fma_f16 v11, v11, v85, -v17
	v_fma_f16 v17, v13, v87, -v53
	v_mul_f16_sdwa v53, v102, v88 dst_sel:DWORD dst_unused:UNUSED_PAD src0_sel:DWORD src1_sel:WORD_1
	v_mul_f16_sdwa v121, v54, v84 dst_sel:DWORD dst_unused:UNUSED_PAD src0_sel:DWORD src1_sel:WORD_1
	v_fmac_f16_e32 v77, v52, v83
	v_fma_f16 v83, v54, v84, -v50
	v_mul_f16_sdwa v52, v113, v86 dst_sel:DWORD dst_unused:UNUSED_PAD src0_sel:DWORD src1_sel:WORD_1
	v_fma_f16 v59, v18, v88, -v53
	s_waitcnt vmcnt(3)
	v_mul_f16_sdwa v53, v68, v90 dst_sel:DWORD dst_unused:UNUSED_PAD src0_sel:DWORD src1_sel:WORD_1
	v_mul_f16_sdwa v54, v100, v89 dst_sel:DWORD dst_unused:UNUSED_PAD src0_sel:DWORD src1_sel:WORD_1
	;; [unrolled: 1-line block ×3, first 2 shown]
	v_fmac_f16_e32 v120, v67, v82
	v_fma_f16 v57, v14, v86, -v52
	v_fma_f16 v60, v19, v90, -v53
	s_waitcnt vmcnt(1)
	v_mul_f16_sdwa v53, v107, v94 dst_sel:DWORD dst_unused:UNUSED_PAD src0_sel:DWORD src1_sel:WORD_1
	v_mul_f16_sdwa v52, v18, v88 dst_sel:DWORD dst_unused:UNUSED_PAD src0_sel:DWORD src1_sel:WORD_1
	v_fma_f16 v18, v15, v89, -v54
	v_mul_f16_sdwa v54, v109, v91 dst_sel:DWORD dst_unused:UNUSED_PAD src0_sel:DWORD src1_sel:WORD_1
	v_fma_f16 v67, v22, v92, -v56
	v_mul_f16_sdwa v56, v22, v92 dst_sel:DWORD dst_unused:UNUSED_PAD src0_sel:DWORD src1_sel:WORD_1
	v_mul_f16_sdwa v22, v108, v93 dst_sel:DWORD dst_unused:UNUSED_PAD src0_sel:DWORD src1_sel:WORD_1
	v_fma_f16 v82, v16, v94, -v53
	s_waitcnt vmcnt(0)
	v_mul_f16_sdwa v53, v96, v95 dst_sel:DWORD dst_unused:UNUSED_PAD src0_sel:DWORD src1_sel:WORD_1
	v_mul_f16_sdwa v50, v14, v86 dst_sel:DWORD dst_unused:UNUSED_PAD src0_sel:DWORD src1_sel:WORD_1
	;; [unrolled: 1-line block ×5, first 2 shown]
	v_fma_f16 v19, v23, v91, -v54
	v_mul_f16_sdwa v23, v21, v93 dst_sel:DWORD dst_unused:UNUSED_PAD src0_sel:DWORD src1_sel:WORD_1
	v_mul_f16_sdwa v80, v16, v94 dst_sel:DWORD dst_unused:UNUSED_PAD src0_sel:DWORD src1_sel:WORD_1
	v_fma_f16 v21, v21, v93, -v22
	v_add_f16_e32 v22, v63, v69
	v_mul_f16_sdwa v16, v20, v95 dst_sel:DWORD dst_unused:UNUSED_PAD src0_sel:DWORD src1_sel:WORD_1
	v_sub_f16_e32 v54, v64, v63
	v_sub_f16_e32 v66, v71, v69
	v_fma_f16 v20, v20, v95, -v53
	v_add_f16_e32 v53, v64, v71
	v_fmac_f16_e32 v55, v68, v90
	v_fma_f16 v22, -0.5, v22, v9
	v_sub_f16_e32 v68, v101, v104
	v_add_f16_e32 v54, v54, v66
	v_add_f16_e32 v66, v9, v64
	v_fmac_f16_e32 v9, -0.5, v53
	v_fmac_f16_e32 v121, v97, v84
	v_sub_f16_e32 v58, v65, v112
	v_sub_f16_e32 v53, v63, v64
	;; [unrolled: 1-line block ×3, first 2 shown]
	v_fmamk_f16 v84, v68, 0xbb9c, v9
	v_fmac_f16_e32 v9, 0x3b9c, v68
	v_add_f16_e32 v66, v66, v63
	v_fmamk_f16 v72, v58, 0x3b9c, v22
	v_fmac_f16_e32 v22, 0xbb9c, v58
	v_add_f16_e32 v53, v53, v70
	v_fmac_f16_e32 v84, 0x38b4, v58
	v_fmac_f16_e32 v9, 0xb8b4, v58
	v_add_f16_e32 v58, v66, v69
	v_fmac_f16_e32 v10, v114, v85
	v_fmac_f16_e32 v72, 0x38b4, v68
	;; [unrolled: 1-line block ×4, first 2 shown]
	v_add_f16_e32 v53, v58, v71
	v_add_f16_e32 v58, v101, v104
	v_fmac_f16_e32 v22, 0xb8b4, v68
	v_sub_f16_e32 v64, v64, v71
	v_fmac_f16_e32 v50, v113, v86
	v_mul_f16_sdwa v13, v13, v87 dst_sel:DWORD dst_unused:UNUSED_PAD src0_sel:DWORD src1_sel:WORD_1
	s_waitcnt lgkmcnt(0)
	v_fma_f16 v85, -0.5, v58, v115
	v_sub_f16_e32 v58, v63, v69
	v_add_f16_e32 v63, v65, v112
	v_fmac_f16_e32 v72, 0x34f2, v54
	v_fmac_f16_e32 v22, 0x34f2, v54
	v_add_f16_e32 v54, v115, v65
	v_sub_f16_e32 v66, v65, v101
	v_sub_f16_e32 v68, v112, v104
	v_fmamk_f16 v86, v64, 0xbb9c, v85
	v_fmac_f16_e32 v85, 0x3b9c, v64
	v_fmac_f16_e32 v115, -0.5, v63
	v_fmac_f16_e32 v13, v99, v87
	v_add_f16_e32 v66, v66, v68
	v_sub_f16_e32 v63, v101, v65
	v_fmac_f16_e32 v86, 0xb8b4, v58
	v_fmac_f16_e32 v85, 0x38b4, v58
	v_sub_f16_e32 v65, v104, v112
	v_fmamk_f16 v87, v58, 0x3b9c, v115
	v_fmac_f16_e32 v115, 0xbb9c, v58
	v_fmac_f16_e32 v86, 0x34f2, v66
	;; [unrolled: 1-line block ×3, first 2 shown]
	v_add_f16_e32 v58, v62, v117
	v_add_f16_e32 v63, v63, v65
	v_fmac_f16_e32 v87, 0xb8b4, v64
	v_sub_f16_e32 v65, v61, v62
	v_sub_f16_e32 v66, v21, v117
	v_fmac_f16_e32 v115, 0x38b4, v64
	v_add_f16_e32 v64, v61, v21
	v_fmac_f16_e32 v23, v108, v93
	v_fma_f16 v58, -0.5, v58, v48
	v_add_f16_e32 v65, v65, v66
	v_add_f16_e32 v66, v48, v61
	v_sub_f16_e32 v70, v103, v110
	v_fmac_f16_e32 v48, -0.5, v64
	v_fmac_f16_e32 v52, v102, v88
	v_sub_f16_e32 v68, v98, v23
	v_sub_f16_e32 v64, v62, v61
	;; [unrolled: 1-line block ×3, first 2 shown]
	v_fmamk_f16 v88, v70, 0xbb9c, v48
	v_fmac_f16_e32 v48, 0x3b9c, v70
	v_add_f16_e32 v66, v66, v62
	v_fmamk_f16 v69, v68, 0x3b9c, v58
	v_fmac_f16_e32 v58, 0xbb9c, v68
	v_add_f16_e32 v64, v64, v71
	v_fmac_f16_e32 v88, 0x38b4, v68
	v_fmac_f16_e32 v48, 0xb8b4, v68
	;; [unrolled: 1-line block ×4, first 2 shown]
	v_add_f16_e32 v63, v66, v117
	v_fmac_f16_e32 v69, 0x38b4, v70
	v_fmac_f16_e32 v58, 0xb8b4, v70
	;; [unrolled: 1-line block ×4, first 2 shown]
	v_add_f16_e32 v63, v63, v21
	v_sub_f16_e32 v21, v61, v21
	v_add_f16_e32 v61, v103, v110
	v_add_f16_e32 v64, v98, v23
	v_fmac_f16_e32 v69, 0x34f2, v65
	v_fmac_f16_e32 v58, 0x34f2, v65
	v_sub_f16_e32 v62, v62, v117
	v_add_f16_e32 v65, v49, v98
	v_fma_f16 v61, -0.5, v61, v49
	v_fmac_f16_e32 v49, -0.5, v64
	v_fmac_f16_e32 v14, v100, v89
	v_sub_f16_e32 v66, v98, v103
	v_sub_f16_e32 v68, v23, v110
	v_add_f16_e32 v64, v65, v103
	v_sub_f16_e32 v65, v103, v98
	v_fmamk_f16 v70, v21, 0xbb9c, v61
	v_sub_f16_e32 v71, v110, v23
	v_fmamk_f16 v89, v62, 0x3b9c, v49
	v_add_f16_e32 v66, v66, v68
	v_fmac_f16_e32 v61, 0x3b9c, v21
	v_fmac_f16_e32 v70, 0xb8b4, v62
	v_add_f16_e32 v65, v65, v71
	v_fmac_f16_e32 v89, 0xb8b4, v21
	v_fmac_f16_e32 v49, 0xbb9c, v62
	v_add_f16_e32 v54, v54, v101
	v_add_f16_e32 v64, v64, v110
	v_fmac_f16_e32 v70, 0x34f2, v66
	v_fmac_f16_e32 v89, 0x34f2, v65
	;; [unrolled: 1-line block ×4, first 2 shown]
	v_add_f16_e32 v54, v54, v104
	v_add_f16_e32 v64, v64, v23
	v_mul_f16_e32 v21, 0x38b4, v70
	v_mul_f16_e32 v23, 0x3b9c, v89
	v_fmac_f16_e32 v61, 0x34f2, v66
	v_fmac_f16_e32 v49, 0x34f2, v65
	v_mul_f16_e32 v65, 0xbb9c, v88
	v_mul_f16_e32 v62, 0x34f2, v48
	v_add_f16_e32 v54, v54, v112
	v_mul_f16_e32 v90, 0xb8b4, v69
	v_fmac_f16_e32 v21, 0x3a79, v69
	v_fmac_f16_e32 v23, 0x34f2, v88
	v_mul_f16_e32 v66, 0x34f2, v49
	v_mul_f16_e32 v68, 0x3a79, v58
	;; [unrolled: 1-line block ×3, first 2 shown]
	v_fmac_f16_e32 v65, 0x34f2, v89
	v_fma_f16 v49, v49, 0x3b9c, -v62
	v_fmac_f16_e32 v90, 0x3a79, v70
	v_fma_f16 v88, v48, 0xbb9c, -v66
	v_fma_f16 v48, v61, 0x38b4, -v68
	;; [unrolled: 1-line block ×3, first 2 shown]
	v_add_f16_e32 v68, v53, v63
	v_sub_f16_e32 v61, v53, v63
	v_add_f16_e32 v70, v72, v21
	v_sub_f16_e32 v62, v72, v21
	;; [unrolled: 2-line block ×5, first 2 shown]
	v_add_f16_e32 v49, v87, v65
	v_add_f16_e32 v58, v119, v111
	v_sub_f16_e32 v53, v87, v65
	v_sub_f16_e32 v64, v105, v119
	;; [unrolled: 1-line block ×3, first 2 shown]
	v_add_f16_e32 v87, v105, v83
	v_add_f16_e32 v54, v115, v88
	v_fma_f16 v84, -0.5, v58, v4
	v_sub_f16_e32 v58, v115, v88
	v_add_f16_e32 v88, v64, v65
	v_add_f16_e32 v64, v4, v105
	v_sub_f16_e32 v65, v118, v120
	v_fmac_f16_e32 v4, -0.5, v87
	v_fmac_f16_e32 v15, v109, v91
	v_fmac_f16_e32 v56, v106, v92
	v_add_f16_e32 v72, v22, v48
	v_sub_f16_e32 v66, v22, v48
	v_add_f16_e32 v48, v86, v90
	v_sub_f16_e32 v22, v86, v90
	v_sub_f16_e32 v86, v116, v121
	;; [unrolled: 1-line block ×4, first 2 shown]
	v_fmamk_f16 v92, v65, 0xbb9c, v4
	v_fmac_f16_e32 v4, 0x3b9c, v65
	v_fmamk_f16 v90, v86, 0x3b9c, v84
	v_fmac_f16_e32 v84, 0xbb9c, v86
	v_add_f16_e32 v87, v87, v91
	v_add_f16_e32 v91, v64, v119
	v_fmac_f16_e32 v92, 0x38b4, v86
	v_fmac_f16_e32 v4, 0xb8b4, v86
	v_fmac_f16_e32 v90, 0x38b4, v65
	v_fmac_f16_e32 v84, 0xb8b4, v65
	v_add_f16_e32 v65, v85, v89
	v_sub_f16_e32 v64, v85, v89
	v_add_f16_e32 v85, v91, v111
	v_fmac_f16_e32 v92, 0x34f2, v87
	v_fmac_f16_e32 v4, 0x34f2, v87
	v_add_f16_e32 v87, v118, v120
	v_fmac_f16_e32 v90, 0x34f2, v88
	v_fmac_f16_e32 v84, 0x34f2, v88
	v_add_f16_e32 v85, v85, v83
	v_sub_f16_e32 v83, v105, v83
	v_sub_f16_e32 v88, v116, v118
	;; [unrolled: 1-line block ×3, first 2 shown]
	v_fma_f16 v87, -0.5, v87, v12
	v_add_f16_e32 v93, v116, v121
	v_add_f16_e32 v86, v12, v116
	v_sub_f16_e32 v91, v119, v111
	v_add_f16_e32 v88, v88, v89
	v_fmamk_f16 v89, v83, 0xbb9c, v87
	v_fmac_f16_e32 v87, 0x3b9c, v83
	v_fmac_f16_e32 v12, -0.5, v93
	v_fmac_f16_e32 v80, v107, v94
	v_fmac_f16_e32 v16, v96, v95
	v_sub_f16_e32 v93, v118, v116
	v_fmac_f16_e32 v89, 0xb8b4, v91
	v_fmac_f16_e32 v87, 0x38b4, v91
	v_sub_f16_e32 v94, v120, v121
	v_fmamk_f16 v95, v91, 0x3b9c, v12
	v_fmac_f16_e32 v12, 0xbb9c, v91
	v_fmac_f16_e32 v89, 0x34f2, v88
	;; [unrolled: 1-line block ×3, first 2 shown]
	v_add_f16_e32 v88, v79, v81
	v_add_f16_e32 v91, v93, v94
	v_fmac_f16_e32 v95, 0xb8b4, v83
	v_sub_f16_e32 v93, v78, v79
	v_sub_f16_e32 v94, v82, v81
	v_fmac_f16_e32 v12, 0x38b4, v83
	v_add_f16_e32 v83, v78, v82
	v_fma_f16 v88, -0.5, v88, v73
	v_sub_f16_e32 v98, v76, v77
	v_add_f16_e32 v93, v93, v94
	v_add_f16_e32 v94, v73, v78
	v_fmac_f16_e32 v73, -0.5, v83
	v_sub_f16_e32 v96, v75, v80
	v_sub_f16_e32 v83, v79, v78
	;; [unrolled: 1-line block ×3, first 2 shown]
	v_add_f16_e32 v94, v94, v79
	v_fmamk_f16 v100, v98, 0xbb9c, v73
	v_fmac_f16_e32 v73, 0x3b9c, v98
	v_fmac_f16_e32 v95, 0x34f2, v91
	v_add_f16_e32 v83, v83, v99
	v_fmac_f16_e32 v12, 0x34f2, v91
	v_fmac_f16_e32 v100, 0x38b4, v96
	v_fmac_f16_e32 v73, 0xb8b4, v96
	v_add_f16_e32 v91, v94, v81
	v_fmamk_f16 v97, v96, 0x3b9c, v88
	v_fmac_f16_e32 v88, 0xbb9c, v96
	v_fmac_f16_e32 v100, 0x34f2, v83
	;; [unrolled: 1-line block ×3, first 2 shown]
	v_add_f16_e32 v83, v91, v82
	v_sub_f16_e32 v78, v78, v82
	v_add_f16_e32 v82, v76, v77
	v_sub_f16_e32 v79, v79, v81
	v_add_f16_e32 v81, v75, v80
	v_fmac_f16_e32 v97, 0x38b4, v98
	v_fmac_f16_e32 v88, 0xb8b4, v98
	v_add_f16_e32 v91, v74, v75
	v_fma_f16 v82, -0.5, v82, v74
	v_fmac_f16_e32 v74, -0.5, v81
	v_fmac_f16_e32 v97, 0x34f2, v93
	v_fmac_f16_e32 v88, 0x34f2, v93
	v_sub_f16_e32 v93, v75, v76
	v_sub_f16_e32 v94, v80, v77
	v_add_f16_e32 v81, v91, v76
	v_sub_f16_e32 v75, v76, v75
	v_fmamk_f16 v76, v78, 0xbb9c, v82
	v_sub_f16_e32 v91, v77, v80
	v_fmamk_f16 v96, v79, 0x3b9c, v74
	v_fmac_f16_e32 v74, 0xbb9c, v79
	v_add_f16_e32 v93, v93, v94
	v_fmac_f16_e32 v76, 0xb8b4, v79
	v_add_f16_e32 v75, v75, v91
	v_fmac_f16_e32 v96, 0xb8b4, v78
	v_fmac_f16_e32 v82, 0x3b9c, v78
	;; [unrolled: 1-line block ×3, first 2 shown]
	v_add_f16_e32 v86, v86, v118
	v_add_f16_e32 v77, v81, v77
	v_fmac_f16_e32 v76, 0x34f2, v93
	v_fmac_f16_e32 v96, 0x34f2, v75
	;; [unrolled: 1-line block ×3, first 2 shown]
	v_mul_f16_e32 v79, 0xb8b4, v97
	v_fmac_f16_e32 v74, 0x34f2, v75
	v_add_f16_e32 v86, v86, v120
	v_add_f16_e32 v77, v77, v80
	v_mul_f16_e32 v78, 0x38b4, v76
	v_mul_f16_e32 v80, 0x3b9c, v96
	v_fmac_f16_e32 v82, 0x34f2, v93
	v_fmac_f16_e32 v79, 0x3a79, v76
	v_mul_f16_e32 v75, 0x34f2, v73
	v_mul_f16_e32 v76, 0x34f2, v74
	;; [unrolled: 1-line block ×3, first 2 shown]
	v_add_f16_e32 v86, v86, v121
	v_fmac_f16_e32 v78, 0x3a79, v97
	v_fmac_f16_e32 v80, 0x34f2, v100
	v_mul_f16_e32 v93, 0x3a79, v82
	v_fma_f16 v74, v74, 0x3b9c, -v75
	v_fma_f16 v94, v73, 0xbb9c, -v76
	;; [unrolled: 1-line block ×3, first 2 shown]
	v_mul_f16_e32 v81, 0xbb9c, v100
	v_fma_f16 v82, v88, 0xb8b4, -v93
	v_add_f16_e32 v88, v85, v83
	v_sub_f16_e32 v83, v85, v83
	v_add_f16_e32 v85, v90, v78
	v_sub_f16_e32 v78, v90, v78
	;; [unrolled: 2-line block ×7, first 2 shown]
	v_add_f16_e32 v79, v59, v60
	v_add_f16_e32 v86, v12, v94
	v_sub_f16_e32 v89, v57, v59
	v_sub_f16_e32 v93, v67, v60
	;; [unrolled: 1-line block ×3, first 2 shown]
	v_add_f16_e32 v12, v57, v67
	v_fmac_f16_e32 v81, 0x34f2, v96
	v_fma_f16 v79, -0.5, v79, v2
	v_add_f16_e32 v89, v89, v93
	v_add_f16_e32 v93, v2, v57
	v_sub_f16_e32 v97, v52, v55
	v_fmac_f16_e32 v2, -0.5, v12
	v_add_f16_e32 v77, v95, v81
	v_sub_f16_e32 v81, v95, v81
	v_sub_f16_e32 v95, v50, v56
	;; [unrolled: 1-line block ×4, first 2 shown]
	v_fmamk_f16 v99, v97, 0xbb9c, v2
	v_fmac_f16_e32 v2, 0x3b9c, v97
	v_add_f16_e32 v93, v93, v59
	v_fmamk_f16 v96, v95, 0x3b9c, v79
	v_fmac_f16_e32 v79, 0xbb9c, v95
	v_add_f16_e32 v12, v12, v98
	v_fmac_f16_e32 v99, 0x38b4, v95
	v_fmac_f16_e32 v2, 0xb8b4, v95
	v_add_f16_e32 v95, v87, v82
	v_sub_f16_e32 v82, v87, v82
	v_add_f16_e32 v87, v93, v60
	v_fmac_f16_e32 v96, 0x38b4, v97
	v_fmac_f16_e32 v79, 0xb8b4, v97
	;; [unrolled: 1-line block ×4, first 2 shown]
	v_add_f16_e32 v12, v87, v67
	v_add_f16_e32 v87, v8, v50
	v_fmac_f16_e32 v96, 0x34f2, v89
	v_fmac_f16_e32 v79, 0x34f2, v89
	v_add_f16_e32 v89, v52, v55
	v_sub_f16_e32 v57, v57, v67
	v_add_f16_e32 v87, v87, v52
	v_sub_f16_e32 v67, v50, v52
	v_sub_f16_e32 v93, v56, v55
	v_fma_f16 v89, -0.5, v89, v8
	v_sub_f16_e32 v59, v59, v60
	v_add_f16_e32 v60, v50, v56
	v_add_f16_e32 v87, v87, v55
	v_sub_f16_e32 v50, v52, v50
	v_sub_f16_e32 v55, v55, v56
	v_add_f16_e32 v67, v67, v93
	v_fmamk_f16 v93, v57, 0xbb9c, v89
	v_fmac_f16_e32 v89, 0x3b9c, v57
	v_fmac_f16_e32 v8, -0.5, v60
	v_add_f16_e32 v50, v50, v55
	v_sub_f16_e32 v55, v17, v18
	v_sub_f16_e32 v60, v20, v19
	v_add_f16_e32 v52, v87, v56
	v_fmac_f16_e32 v93, 0xb8b4, v59
	v_fmac_f16_e32 v89, 0x38b4, v59
	v_fmamk_f16 v56, v59, 0x3b9c, v8
	v_fmac_f16_e32 v8, 0xbb9c, v59
	v_add_f16_e32 v59, v18, v19
	v_add_f16_e32 v55, v55, v60
	;; [unrolled: 1-line block ×3, first 2 shown]
	v_fmac_f16_e32 v93, 0x34f2, v67
	v_fmac_f16_e32 v89, 0x34f2, v67
	;; [unrolled: 1-line block ×3, first 2 shown]
	v_fma_f16 v59, -0.5, v59, v11
	v_sub_f16_e32 v67, v13, v16
	v_fmac_f16_e32 v8, 0x38b4, v57
	v_add_f16_e32 v57, v17, v20
	v_add_f16_e32 v60, v60, v18
	v_sub_f16_e32 v97, v14, v15
	v_fmamk_f16 v87, v67, 0x3b9c, v59
	v_fmac_f16_e32 v59, 0xbb9c, v67
	v_fmac_f16_e32 v11, -0.5, v57
	v_fmac_f16_e32 v56, 0x34f2, v50
	v_fmac_f16_e32 v8, 0x34f2, v50
	v_add_f16_e32 v50, v60, v19
	v_sub_f16_e32 v57, v18, v17
	v_sub_f16_e32 v98, v19, v20
	v_fmac_f16_e32 v87, 0x38b4, v97
	v_fmamk_f16 v100, v97, 0xbb9c, v11
	v_fmac_f16_e32 v11, 0x3b9c, v97
	v_fmac_f16_e32 v59, 0xb8b4, v97
	v_add_f16_e32 v50, v50, v20
	v_sub_f16_e32 v17, v17, v20
	v_add_f16_e32 v20, v14, v15
	v_sub_f16_e32 v18, v18, v19
	v_add_f16_e32 v19, v13, v16
	v_add_f16_e32 v57, v57, v98
	v_fmac_f16_e32 v100, 0x38b4, v67
	v_fmac_f16_e32 v11, 0xb8b4, v67
	;; [unrolled: 1-line block ×4, first 2 shown]
	v_add_f16_e32 v55, v10, v13
	v_fma_f16 v20, -0.5, v20, v10
	v_fmac_f16_e32 v10, -0.5, v19
	v_fmac_f16_e32 v100, 0x34f2, v57
	v_fmac_f16_e32 v11, 0x34f2, v57
	v_sub_f16_e32 v57, v13, v14
	v_add_f16_e32 v19, v55, v14
	v_sub_f16_e32 v13, v14, v13
	v_sub_f16_e32 v55, v15, v16
	v_fmamk_f16 v67, v18, 0x3b9c, v10
	v_fmac_f16_e32 v10, 0xbb9c, v18
	v_sub_f16_e32 v60, v16, v15
	v_fmamk_f16 v14, v17, 0xbb9c, v20
	v_add_f16_e32 v13, v13, v55
	v_fmac_f16_e32 v67, 0xb8b4, v17
	v_fmac_f16_e32 v10, 0x38b4, v17
	v_add_f16_e32 v57, v57, v60
	v_fmac_f16_e32 v14, 0xb8b4, v18
	v_fmac_f16_e32 v20, 0x3b9c, v17
	;; [unrolled: 1-line block ×4, first 2 shown]
	v_add_f16_e32 v15, v19, v15
	v_fmac_f16_e32 v14, 0x34f2, v57
	v_fmac_f16_e32 v20, 0x38b4, v18
	v_mul_f16_e32 v17, 0xb8b4, v87
	v_mul_f16_e32 v18, 0x3b9c, v67
	;; [unrolled: 1-line block ×3, first 2 shown]
	v_add_f16_e32 v15, v15, v16
	v_mul_f16_e32 v16, 0x38b4, v14
	v_fmac_f16_e32 v20, 0x34f2, v57
	v_fmac_f16_e32 v17, 0x3a79, v14
	v_mul_f16_e32 v14, 0x34f2, v11
	v_mul_f16_e32 v55, 0x3a79, v59
	v_fmac_f16_e32 v18, 0x34f2, v100
	v_fma_f16 v11, v11, 0xbb9c, -v19
	v_mul_f16_e32 v13, 0xbb9c, v100
	v_mul_f16_e32 v57, 0x3a79, v20
	v_fma_f16 v10, v10, 0x3b9c, -v14
	v_fma_f16 v14, v20, 0x38b4, -v55
	v_add_f16_e32 v55, v99, v18
	v_sub_f16_e32 v18, v99, v18
	v_add_f16_e32 v98, v8, v11
	v_sub_f16_e32 v99, v8, v11
	v_mov_b32_e32 v8, 0x5dc
	v_fmac_f16_e32 v13, 0x34f2, v67
	v_fma_f16 v19, v59, 0xb8b4, -v57
	v_add_f16_e32 v57, v2, v10
	v_sub_f16_e32 v2, v2, v10
	v_add_f16_e32 v10, v79, v14
	v_sub_f16_e32 v14, v79, v14
	;; [unrolled: 2-line block ×3, first 2 shown]
	v_cndmask_b32_e64 v15, 0, 0x5dc, s0
	v_mul_u32_u24_sdwa v0, v0, v8 dst_sel:DWORD dst_unused:UNUSED_PAD src0_sel:WORD_0 src1_sel:DWORD
	v_fmac_f16_e32 v16, 0x3a79, v87
	v_mul_u32_u24_sdwa v5, v5, v8 dst_sel:DWORD dst_unused:UNUSED_PAD src0_sel:WORD_0 src1_sel:DWORD
	v_add_f16_e32 v20, v12, v50
	v_add3_u32 v3, 0, v15, v3
	v_add3_u32 v0, 0, v0, v7
	v_sub_f16_e32 v12, v12, v50
	v_add_f16_e32 v50, v96, v16
	v_sub_f16_e32 v16, v96, v16
	s_barrier
	buffer_gl0_inv
	ds_write_b16 v3, v68
	ds_write_b16 v3, v70 offset:150
	ds_write_b16 v3, v69 offset:300
	;; [unrolled: 1-line block ×9, first 2 shown]
	ds_write_b16 v0, v88
	ds_write_b16 v0, v85 offset:150
	v_add3_u32 v66, 0, v5, v6
	v_add_f16_e32 v87, v93, v17
	v_sub_f16_e32 v93, v93, v17
	v_add_f16_e32 v96, v56, v13
	v_sub_f16_e32 v97, v56, v13
	;; [unrolled: 2-line block ×3, first 2 shown]
	ds_write_b16 v0, v90 offset:300
	ds_write_b16 v0, v91 offset:450
	;; [unrolled: 1-line block ×8, first 2 shown]
	ds_write_b16 v66, v20
	ds_write_b16 v66, v50 offset:150
	ds_write_b16 v66, v55 offset:300
	;; [unrolled: 1-line block ×9, first 2 shown]
	s_waitcnt lgkmcnt(0)
	s_barrier
	buffer_gl0_inv
	ds_read_u16 v15, v40 offset:5000
	ds_read_u16 v50, v40 offset:5250
	ds_read_u16 v4, v40
	ds_read_u16 v10, v40 offset:1750
	ds_read_u16 v16, v40 offset:2000
	;; [unrolled: 1-line block ×8, first 2 shown]
	ds_read_u16 v5, v30
	ds_read_u16 v9, v32
	;; [unrolled: 1-line block ×6, first 2 shown]
	ds_read_u16 v11, v40 offset:3250
	ds_read_u16 v6, v40 offset:3000
	;; [unrolled: 1-line block ×13, first 2 shown]
	s_waitcnt lgkmcnt(0)
	s_barrier
	buffer_gl0_inv
	ds_write_b16 v3, v23
	ds_write_b16 v3, v48 offset:150
	ds_write_b16 v3, v49 offset:300
	ds_write_b16 v3, v54 offset:450
	ds_write_b16 v3, v65 offset:600
	ds_write_b16 v3, v21 offset:750
	ds_write_b16 v3, v22 offset:900
	ds_write_b16 v3, v53 offset:1050
	ds_write_b16 v3, v58 offset:1200
	ds_write_b16 v3, v64 offset:1350
	ds_write_b16 v0, v75
	ds_write_b16 v0, v76 offset:150
	ds_write_b16 v0, v77 offset:300
	ds_write_b16 v0, v86 offset:450
	ds_write_b16 v0, v95 offset:600
	ds_write_b16 v0, v73 offset:750
	ds_write_b16 v0, v74 offset:900
	ds_write_b16 v0, v81 offset:1050
	ds_write_b16 v0, v94 offset:1200
	ds_write_b16 v0, v82 offset:1350
	ds_write_b16 v66, v67
	ds_write_b16 v66, v87 offset:150
	ds_write_b16 v66, v96 offset:300
	ds_write_b16 v66, v98 offset:450
	ds_write_b16 v66, v100 offset:600
	ds_write_b16 v66, v79 offset:750
	ds_write_b16 v66, v93 offset:900
	ds_write_b16 v66, v97 offset:1050
	ds_write_b16 v66, v99 offset:1200
	ds_write_b16 v66, v89 offset:1350
	s_waitcnt lgkmcnt(0)
	s_barrier
	buffer_gl0_inv
	s_and_saveexec_b32 s0, vcc_lo
	s_cbranch_execz .LBB0_15
; %bb.14:
	v_mov_b32_e32 v36, v1
	v_mov_b32_e32 v34, v1
	;; [unrolled: 1-line block ×4, first 2 shown]
	v_sub_nc_u32_e32 v58, 0, v28
	v_lshlrev_b64 v[2:3], 2, v[35:36]
	v_lshlrev_b64 v[21:22], 2, v[33:34]
	;; [unrolled: 1-line block ×3, first 2 shown]
	v_sub_nc_u32_e32 v32, 0, v35
	v_mul_lo_u32 v27, s4, v27
	v_add_nc_u32_e32 v39, v39, v58
	v_add_co_u32 v0, vcc_lo, s12, v2
	v_add_co_ci_u32_e32 v23, vcc_lo, s13, v3, vcc_lo
	v_lshlrev_b64 v[2:3], 2, v[29:30]
	v_add_co_u32 v53, vcc_lo, 0x800, v0
	v_add_co_ci_u32_e32 v54, vcc_lo, 0, v23, vcc_lo
	v_add_co_u32 v0, vcc_lo, s12, v21
	v_add_co_ci_u32_e32 v22, vcc_lo, s13, v22, vcc_lo
	global_load_dwordx4 v[64:67], v[53:54], off offset:940
	v_add_co_u32 v21, vcc_lo, 0x800, v0
	v_add_co_ci_u32_e32 v22, vcc_lo, 0, v22, vcc_lo
	v_add_co_u32 v0, vcc_lo, s12, v48
	v_add_co_ci_u32_e32 v23, vcc_lo, s13, v49, vcc_lo
	global_load_dwordx4 v[68:71], v[21:22], off offset:940
	;; [unrolled: 5-line block ×3, first 2 shown]
	v_add_co_u32 v2, vcc_lo, 0x800, v0
	v_add_co_ci_u32_e32 v3, vcc_lo, 0, v3, vcc_lo
	v_sub_nc_u32_e32 v23, 0, v29
	v_mov_b32_e32 v29, v1
	v_sub_nc_u32_e32 v53, 0, v45
	global_load_dwordx4 v[76:79], v[2:3], off offset:940
	v_sub_nc_u32_e32 v30, 0, v31
	v_sub_nc_u32_e32 v31, 0, v33
	v_lshlrev_b64 v[21:22], 2, v[28:29]
	v_mul_lo_u32 v33, s5, v26
	v_mad_u64_u32 v[2:3], null, s4, v26, 0
	ds_read_u16 v26, v40 offset:2750
	ds_read_u16 v34, v40 offset:7250
	;; [unrolled: 1-line block ×13, first 2 shown]
	v_add_co_u32 v21, vcc_lo, s12, v21
	v_add_co_ci_u32_e32 v22, vcc_lo, s13, v22, vcc_lo
	ds_read_u16 v28, v40 offset:4250
	ds_read_u16 v29, v40 offset:4000
	;; [unrolled: 1-line block ×4, first 2 shown]
	v_add_co_u32 v21, vcc_lo, 0x800, v21
	v_add_co_ci_u32_e32 v22, vcc_lo, 0, v22, vcc_lo
	ds_read_u16 v95, v40 offset:3250
	ds_read_u16 v96, v40 offset:3000
	v_lshlrev_b32_e32 v0, 2, v37
	v_add_nc_u32_e32 v32, v44, v32
	global_load_dwordx4 v[80:83], v[21:22], off offset:940
	v_add_nc_u32_e32 v21, v43, v31
	v_add_nc_u32_e32 v22, v42, v30
	v_lshlrev_b64 v[0:1], 2, v[0:1]
	v_add_nc_u32_e32 v23, v41, v23
	v_add3_u32 v3, v3, v27, v33
	ds_read_u16 v27, v32
	ds_read_u16 v30, v40 offset:2500
	ds_read_u16 v21, v21
	ds_read_u16 v31, v22
	;; [unrolled: 1-line block ×3, first 2 shown]
	ds_read_u16 v23, v40 offset:2250
	ds_read_u16 v100, v40 offset:2000
	;; [unrolled: 1-line block ×3, first 2 shown]
	v_add_co_u32 v0, vcc_lo, s12, v0
	v_add_co_ci_u32_e32 v1, vcc_lo, s13, v1, vcc_lo
	v_add_nc_u32_e32 v38, v38, v53
	v_add_co_u32 v0, vcc_lo, 0x800, v0
	v_add_co_ci_u32_e32 v1, vcc_lo, 0, v1, vcc_lo
	v_lshlrev_b64 v[2:3], 2, v[2:3]
	global_load_dwordx4 v[84:87], v[0:1], off offset:940
	ds_read_u16 v39, v39
	ds_read_u16 v40, v40
	;; [unrolled: 1-line block ×3, first 2 shown]
	v_add_co_u32 v2, vcc_lo, s10, v2
	v_add_co_ci_u32_e32 v3, vcc_lo, s11, v3, vcc_lo
	s_waitcnt vmcnt(5)
	v_lshrrev_b32_e32 v0, 16, v64
	v_lshrrev_b32_e32 v1, 16, v65
	;; [unrolled: 1-line block ×4, first 2 shown]
	s_waitcnt lgkmcnt(16)
	v_mul_f16_e32 v33, v65, v28
	v_mul_f16_e32 v41, v64, v26
	;; [unrolled: 1-line block ×4, first 2 shown]
	s_waitcnt vmcnt(4)
	v_lshrrev_b32_e32 v44, 16, v68
	v_lshrrev_b32_e32 v98, 16, v69
	;; [unrolled: 1-line block ×4, first 2 shown]
	s_waitcnt lgkmcnt(15)
	v_mul_f16_e32 v102, v69, v29
	s_waitcnt lgkmcnt(9)
	v_mul_f16_e32 v103, v68, v30
	v_mul_f16_e32 v104, v70, v49
	;; [unrolled: 1-line block ×3, first 2 shown]
	v_fmac_f16_e32 v33, v61, v1
	s_waitcnt vmcnt(3)
	v_lshrrev_b32_e32 v106, 16, v72
	v_lshrrev_b32_e32 v107, 16, v73
	;; [unrolled: 1-line block ×4, first 2 shown]
	v_mul_f16_e32 v110, v73, v93
	s_waitcnt lgkmcnt(5)
	v_mul_f16_e32 v111, v72, v23
	v_mul_f16_e32 v112, v74, v54
	v_mul_f16_e32 v113, v75, v36
	v_fmac_f16_e32 v41, v60, v0
	v_fmac_f16_e32 v42, v62, v22
	;; [unrolled: 1-line block ×3, first 2 shown]
	v_mul_f16_e32 v0, v0, v26
	v_mul_f16_e32 v26, v32, v34
	;; [unrolled: 1-line block ×4, first 2 shown]
	v_fmac_f16_e32 v102, v56, v98
	v_fmac_f16_e32 v103, v55, v44
	;; [unrolled: 1-line block ×4, first 2 shown]
	v_mul_f16_e32 v28, v44, v30
	v_mul_f16_e32 v30, v101, v35
	;; [unrolled: 1-line block ×4, first 2 shown]
	s_waitcnt vmcnt(2)
	v_lshrrev_b32_e32 v114, 16, v76
	v_lshrrev_b32_e32 v116, 16, v78
	;; [unrolled: 1-line block ×3, first 2 shown]
	s_waitcnt lgkmcnt(4)
	v_mul_f16_e32 v120, v76, v100
	v_mul_f16_e32 v122, v79, v45
	v_fmac_f16_e32 v110, v52, v107
	v_fmac_f16_e32 v111, v51, v106
	;; [unrolled: 1-line block ×4, first 2 shown]
	v_mul_f16_e32 v23, v106, v23
	v_mul_f16_e32 v34, v109, v36
	;; [unrolled: 1-line block ×3, first 2 shown]
	v_fma_f16 v63, v63, v67, -v26
	v_fma_f16 v61, v61, v65, -v1
	;; [unrolled: 1-line block ×3, first 2 shown]
	v_sub_f16_e32 v1, v41, v33
	v_sub_f16_e32 v22, v43, v42
	v_add_f16_e32 v26, v33, v42
	v_fma_f16 v28, v55, v68, -v28
	v_fma_f16 v55, v59, v71, -v30
	v_add_f16_e32 v30, v103, v105
	v_fma_f16 v29, v56, v69, -v29
	v_fma_f16 v56, v57, v70, -v32
	v_add_f16_e32 v59, v102, v104
	v_add_f16_e32 v68, v103, v21
	v_lshrrev_b32_e32 v115, 16, v77
	v_mul_f16_e32 v118, v77, v94
	v_mul_f16_e32 v121, v78, v90
	v_mul_f16_e32 v35, v107, v93
	v_fmac_f16_e32 v120, v16, v114
	v_fmac_f16_e32 v122, v46, v117
	v_mul_f16_e32 v44, v114, v100
	v_mul_f16_e32 v45, v117, v45
	;; [unrolled: 1-line block ×3, first 2 shown]
	v_sub_f16_e32 v54, v33, v41
	v_sub_f16_e32 v90, v42, v43
	v_fma_f16 v60, v60, v64, -v0
	v_add_f16_e32 v0, v41, v43
	v_add_f16_e32 v64, v41, v27
	v_sub_f16_e32 v66, v41, v43
	v_sub_f16_e32 v41, v102, v103
	;; [unrolled: 1-line block ×6, first 2 shown]
	v_fma_f16 v23, v51, v72, -v23
	v_fma_f16 v72, v47, v75, -v34
	v_add_f16_e32 v34, v111, v113
	v_fma_f16 v50, v50, v74, -v36
	v_sub_f16_e32 v36, v111, v110
	v_sub_f16_e32 v47, v113, v112
	v_add_f16_e32 v51, v110, v112
	v_add_f16_e32 v98, v1, v22
	v_fma_f16 v1, -0.5, v26, v27
	v_fma_f16 v22, -0.5, v30, v21
	;; [unrolled: 1-line block ×3, first 2 shown]
	v_add_f16_e32 v21, v102, v68
	v_add_f16_e32 v102, v29, v56
	v_fmac_f16_e32 v118, v17, v115
	v_fmac_f16_e32 v121, v15, v116
	v_mul_f16_e32 v48, v115, v94
	v_sub_f16_e32 v65, v33, v42
	v_sub_f16_e32 v70, v103, v105
	;; [unrolled: 1-line block ×4, first 2 shown]
	v_fma_f16 v35, v52, v73, -v35
	v_add_f16_e32 v52, v111, v31
	v_fma_f16 v76, v16, v76, -v44
	v_fma_f16 v79, v46, v79, -v45
	v_add_f16_e32 v16, v120, v122
	v_add_f16_e32 v54, v54, v90
	v_sub_f16_e32 v45, v60, v63
	v_fma_f16 v0, -0.5, v0, v27
	v_sub_f16_e32 v90, v61, v62
	v_add_f16_e32 v27, v33, v64
	v_sub_f16_e32 v46, v61, v60
	v_add_f16_e32 v64, v60, v63
	;; [unrolled: 2-line block ×3, first 2 shown]
	v_add_f16_e32 v67, v41, v67
	v_sub_f16_e32 v103, v28, v55
	v_add_f16_e32 v57, v32, v57
	v_sub_f16_e32 v30, v29, v28
	v_sub_f16_e32 v32, v56, v55
	v_add_f16_e32 v41, v28, v55
	v_sub_f16_e32 v59, v28, v29
	v_sub_f16_e32 v68, v55, v56
	v_add_f16_e32 v107, v20, v28
	v_fma_f16 v33, -0.5, v34, v31
	v_add_f16_e32 v109, v36, v47
	v_fma_f16 v36, -0.5, v51, v31
	v_fma_f16 v31, -0.5, v102, v20
	v_sub_f16_e32 v74, v111, v113
	v_fma_f16 v77, v17, v77, -v48
	v_fma_f16 v78, v15, v78, -v49
	v_sub_f16_e32 v15, v120, v118
	v_sub_f16_e32 v17, v122, v121
	v_add_f16_e32 v101, v61, v62
	v_sub_f16_e32 v106, v29, v56
	v_add_f16_e32 v71, v71, v93
	v_sub_f16_e32 v93, v23, v72
	v_sub_f16_e32 v51, v35, v23
	v_add_f16_e32 v111, v23, v72
	v_sub_f16_e32 v114, v23, v35
	v_add_f16_e32 v117, v19, v23
	v_fma_f16 v48, -0.5, v16, v97
	v_fmamk_f16 v16, v90, 0xbb9c, v0
	v_fmac_f16_e32 v0, 0x3b9c, v90
	v_add_f16_e32 v27, v42, v27
	v_add_f16_e32 v42, v61, v60
	v_fmamk_f16 v23, v103, 0x3b9c, v26
	v_fmac_f16_e32 v26, 0xbb9c, v103
	v_add_f16_e32 v61, v30, v32
	v_fma_f16 v30, -0.5, v41, v20
	v_add_f16_e32 v59, v59, v68
	v_add_f16_e32 v68, v29, v107
	v_fmamk_f16 v29, v70, 0xbb9c, v31
	v_fmac_f16_e32 v31, 0x3b9c, v70
	v_add_f16_e32 v44, v118, v121
	v_sub_f16_e32 v49, v62, v63
	v_add_f16_e32 v116, v35, v50
	v_add_f16_e32 v124, v15, v17
	;; [unrolled: 1-line block ×3, first 2 shown]
	v_fma_f16 v17, -0.5, v64, v18
	v_fma_f16 v18, -0.5, v101, v18
	v_add_f16_e32 v60, v104, v21
	v_fmac_f16_e32 v16, 0x38b4, v45
	v_fmac_f16_e32 v0, 0xb8b4, v45
	;; [unrolled: 1-line block ×4, first 2 shown]
	v_fmamk_f16 v32, v69, 0x3b9c, v30
	v_fmac_f16_e32 v30, 0xbb9c, v69
	v_fmac_f16_e32 v29, 0xb8b4, v69
	;; [unrolled: 1-line block ×3, first 2 shown]
	v_sub_f16_e32 v100, v63, v62
	v_sub_f16_e32 v108, v35, v50
	v_add_f16_e32 v47, v110, v52
	v_fma_f16 v52, -0.5, v44, v97
	v_add_f16_e32 v126, v46, v49
	v_fma_f16 v44, -0.5, v111, v19
	v_fma_f16 v46, -0.5, v116, v19
	v_add_f16_e32 v101, v35, v117
	v_add_f16_e32 v21, v43, v27
	v_fmamk_f16 v19, v66, 0xbb9c, v18
	v_fmac_f16_e32 v18, 0x3b9c, v66
	v_add_f16_e32 v35, v105, v60
	v_add_f16_e32 v43, v68, v56
	v_fmac_f16_e32 v16, 0x34f2, v54
	v_fmac_f16_e32 v0, 0x34f2, v54
	;; [unrolled: 1-line block ×8, first 2 shown]
	v_add_f16_e32 v54, v120, v97
	v_fma_f16 v56, -0.5, v125, v14
	v_sub_f16_e32 v60, v118, v121
	v_sub_f16_e32 v57, v77, v76
	;; [unrolled: 1-line block ×3, first 2 shown]
	v_add_f16_e32 v64, v99, v100
	v_fmamk_f16 v28, v106, 0xbb9c, v22
	v_fmac_f16_e32 v22, 0x3b9c, v106
	v_add_f16_e32 v27, v42, v62
	v_fmac_f16_e32 v19, 0xb8b4, v65
	v_fmac_f16_e32 v18, 0x38b4, v65
	v_add_f16_e32 v43, v43, v55
	v_fmac_f16_e32 v32, 0x34f2, v61
	v_fmac_f16_e32 v30, 0x34f2, v61
	v_add_f16_e32 v54, v118, v54
	v_fmamk_f16 v55, v60, 0x3b9c, v56
	v_sub_f16_e32 v61, v120, v122
	v_fmac_f16_e32 v56, 0xbb9c, v60
	v_add_f16_e32 v62, v57, v59
	v_add_f16_e32 v57, v77, v78
	v_fmamk_f16 v20, v65, 0x3b9c, v17
	v_fmac_f16_e32 v17, 0xbb9c, v65
	v_fmac_f16_e32 v28, 0x38b4, v103
	v_fmac_f16_e32 v22, 0xb8b4, v103
	v_add_f16_e32 v27, v27, v63
	v_fmac_f16_e32 v19, 0x34f2, v64
	v_fmac_f16_e32 v18, 0x34f2, v64
	v_add_f16_e32 v54, v121, v54
	v_fmac_f16_e32 v55, 0xb8b4, v61
	v_fmac_f16_e32 v56, 0x38b4, v61
	v_sub_f16_e32 v63, v76, v77
	v_sub_f16_e32 v64, v79, v78
	v_fma_f16 v57, -0.5, v57, v14
	v_fmac_f16_e32 v20, 0xb8b4, v66
	v_fmac_f16_e32 v17, 0x38b4, v66
	;; [unrolled: 1-line block ×4, first 2 shown]
	v_add_f16_e32 v59, v122, v54
	v_fmac_f16_e32 v55, 0x34f2, v62
	v_fmac_f16_e32 v56, 0x34f2, v62
	v_add_f16_e32 v62, v63, v64
	v_fmamk_f16 v54, v61, 0xbb9c, v57
	v_fmac_f16_e32 v57, 0x3b9c, v61
	s_waitcnt vmcnt(1)
	v_lshrrev_b32_e32 v58, 16, v80
	v_lshrrev_b32_e32 v61, 16, v81
	v_mul_f16_e32 v63, v81, v95
	s_waitcnt lgkmcnt(3)
	v_mul_f16_e32 v64, v80, v119
	v_lshrrev_b32_e32 v65, 16, v83
	v_mul_f16_e32 v66, v83, v88
	v_lshrrev_b32_e32 v67, 16, v82
	v_mul_f16_e32 v68, v82, v91
	v_add_f16_e32 v14, v14, v76
	v_fmac_f16_e32 v63, v11, v61
	v_fmac_f16_e32 v64, v10, v58
	;; [unrolled: 1-line block ×3, first 2 shown]
	v_mul_f16_e32 v61, v61, v95
	v_mul_f16_e32 v69, v67, v91
	;; [unrolled: 1-line block ×3, first 2 shown]
	v_fmac_f16_e32 v68, v12, v67
	v_mul_f16_e32 v58, v58, v119
	v_fma_f16 v11, v11, v81, -v61
	v_fma_f16 v61, v12, v82, -v69
	;; [unrolled: 1-line block ×3, first 2 shown]
	v_add_f16_e32 v14, v77, v14
	v_sub_f16_e32 v65, v63, v64
	v_sub_f16_e32 v67, v68, v66
	v_fmamk_f16 v41, v108, 0xbb9c, v33
	v_fmac_f16_e32 v33, 0x3b9c, v108
	v_add_f16_e32 v70, v64, v66
	v_fma_f16 v10, v10, v80, -v58
	v_fmac_f16_e32 v54, 0xb8b4, v60
	v_fmac_f16_e32 v57, 0x38b4, v60
	v_add_f16_e32 v14, v14, v78
	v_add_f16_e32 v60, v65, v67
	;; [unrolled: 1-line block ×3, first 2 shown]
	v_fmac_f16_e32 v41, 0x38b4, v93
	v_fmac_f16_e32 v33, 0xb8b4, v93
	s_waitcnt lgkmcnt(2)
	v_fma_f16 v58, -0.5, v70, v39
	v_sub_f16_e32 v13, v11, v61
	v_sub_f16_e32 v69, v10, v12
	v_fmac_f16_e32 v54, 0x34f2, v62
	v_fmac_f16_e32 v57, 0x34f2, v62
	v_add_f16_e32 v62, v14, v79
	v_fma_f16 v65, -0.5, v65, v39
	v_add_f16_e32 v14, v64, v39
	v_fmac_f16_e32 v41, 0x34f2, v71
	v_fmac_f16_e32 v33, 0x34f2, v71
	v_fmamk_f16 v70, v13, 0xbb9c, v58
	v_fmac_f16_e32 v58, 0x3b9c, v13
	v_sub_f16_e32 v39, v64, v63
	v_sub_f16_e32 v67, v66, v68
	v_fmamk_f16 v71, v69, 0x3b9c, v65
	v_fmac_f16_e32 v65, 0xbb9c, v69
	v_add_f16_e32 v14, v63, v14
	v_fmac_f16_e32 v70, 0x38b4, v69
	v_fmac_f16_e32 v58, 0xb8b4, v69
	v_add_f16_e32 v39, v39, v67
	v_fmac_f16_e32 v71, 0x38b4, v13
	v_fmac_f16_e32 v65, 0xb8b4, v13
	v_add_f16_e32 v13, v68, v14
	v_add_f16_e32 v14, v10, v12
	v_fmac_f16_e32 v70, 0x34f2, v60
	v_fmac_f16_e32 v58, 0x34f2, v60
	;; [unrolled: 1-line block ×4, first 2 shown]
	v_add_f16_e32 v60, v66, v13
	v_fma_f16 v67, -0.5, v14, v9
	v_sub_f16_e32 v13, v63, v68
	v_add_f16_e32 v39, v11, v61
	v_sub_f16_e32 v14, v11, v10
	v_sub_f16_e32 v53, v61, v12
	;; [unrolled: 1-line block ×3, first 2 shown]
	v_fmamk_f16 v63, v13, 0x3b9c, v67
	v_fma_f16 v66, -0.5, v39, v9
	v_fmac_f16_e32 v67, 0xbb9c, v13
	v_sub_f16_e32 v73, v110, v112
	v_sub_f16_e32 v110, v50, v72
	;; [unrolled: 1-line block ×3, first 2 shown]
	v_add_f16_e32 v50, v101, v50
	v_sub_f16_e32 v39, v10, v11
	v_sub_f16_e32 v68, v12, v61
	v_fmamk_f16 v69, v64, 0xbb9c, v66
	v_add_f16_e32 v14, v14, v53
	v_fmac_f16_e32 v63, 0xb8b4, v64
	v_fmac_f16_e32 v67, 0x38b4, v64
	;; [unrolled: 1-line block ×3, first 2 shown]
	v_add_f16_e32 v9, v9, v10
	v_fmamk_f16 v42, v74, 0xbb9c, v46
	v_fmac_f16_e32 v46, 0x3b9c, v74
	v_add_f16_e32 v50, v50, v72
	v_add_f16_e32 v39, v39, v68
	v_fmac_f16_e32 v69, 0xb8b4, v13
	v_fmac_f16_e32 v63, 0x34f2, v14
	;; [unrolled: 1-line block ×4, first 2 shown]
	v_add_f16_e32 v9, v11, v9
	s_waitcnt vmcnt(0)
	v_lshrrev_b32_e32 v10, 16, v84
	v_lshrrev_b32_e32 v11, 16, v85
	v_mul_f16_e32 v13, v85, v96
	s_waitcnt lgkmcnt(0)
	v_mul_f16_e32 v14, v84, v38
	v_lshrrev_b32_e32 v53, 16, v87
	v_lshrrev_b32_e32 v68, 16, v86
	v_mul_f16_e32 v72, v86, v92
	v_sub_f16_e32 v75, v118, v120
	v_sub_f16_e32 v94, v121, v122
	;; [unrolled: 1-line block ×3, first 2 shown]
	v_fmamk_f16 v15, v45, 0x3b9c, v1
	v_fmac_f16_e32 v1, 0xbb9c, v45
	v_fmamk_f16 v45, v73, 0x3b9c, v44
	v_fmac_f16_e32 v44, 0xbb9c, v73
	v_fmac_f16_e32 v42, 0xb8b4, v73
	;; [unrolled: 1-line block ×3, first 2 shown]
	v_mul_f16_e32 v64, v87, v89
	v_fmac_f16_e32 v13, v6, v11
	v_fmac_f16_e32 v14, v5, v10
	v_mul_f16_e32 v11, v11, v96
	v_mul_f16_e32 v73, v68, v92
	;; [unrolled: 1-line block ×4, first 2 shown]
	v_fmac_f16_e32 v72, v7, v68
	v_add_f16_e32 v75, v75, v94
	v_sub_f16_e32 v94, v76, v79
	v_add_f16_e32 v99, v51, v110
	v_fmamk_f16 v51, v123, 0xbb9c, v48
	v_fmac_f16_e32 v48, 0x3b9c, v123
	v_fmac_f16_e32 v64, v8, v53
	v_fma_f16 v6, v6, v85, -v11
	v_fma_f16 v11, v7, v86, -v73
	;; [unrolled: 1-line block ×4, first 2 shown]
	v_add_f16_e32 v73, v13, v72
	v_fmac_f16_e32 v51, 0x38b4, v94
	v_fmac_f16_e32 v48, 0xb8b4, v94
	;; [unrolled: 1-line block ×3, first 2 shown]
	v_add_f16_e32 v53, v14, v64
	v_sub_f16_e32 v68, v5, v10
	v_fmac_f16_e32 v66, 0x34f2, v39
	v_add_f16_e32 v9, v9, v61
	v_fma_f16 v39, -0.5, v73, v40
	v_fmac_f16_e32 v51, 0x34f2, v75
	v_fmac_f16_e32 v48, 0x34f2, v75
	v_fma_f16 v38, -0.5, v53, v40
	v_sub_f16_e32 v7, v6, v11
	v_fmamk_f16 v73, v68, 0x3b9c, v39
	v_add_f16_e32 v75, v9, v12
	v_fmac_f16_e32 v39, 0xbb9c, v68
	v_add_f16_e32 v12, v14, v40
	v_fmac_f16_e32 v45, 0xb8b4, v74
	v_fmac_f16_e32 v44, 0x38b4, v74
	v_fmamk_f16 v74, v7, 0xbb9c, v38
	v_fmac_f16_e32 v38, 0x3b9c, v7
	v_fmac_f16_e32 v73, 0x38b4, v7
	;; [unrolled: 1-line block ×3, first 2 shown]
	v_add_f16_e32 v7, v13, v12
	v_mul_hi_u32 v12, 0x57619f1, v37
	v_sub_f16_e32 v8, v13, v14
	v_sub_f16_e32 v53, v72, v64
	v_fmac_f16_e32 v74, 0x38b4, v68
	v_sub_f16_e32 v61, v64, v72
	v_fmac_f16_e32 v38, 0xb8b4, v68
	v_add_f16_e32 v7, v72, v7
	v_add_f16_e32 v8, v8, v53
	v_sub_f16_e32 v53, v14, v13
	v_lshrrev_b32_e32 v12, 4, v12
	v_sub_f16_e32 v14, v14, v64
	v_add_f16_e32 v64, v64, v7
	v_fmac_f16_e32 v74, 0x34f2, v8
	v_add_f16_e32 v9, v53, v61
	v_fmac_f16_e32 v38, 0x34f2, v8
	v_add_f16_e32 v8, v5, v10
	v_mul_u32_u24_e32 v7, 0x2ee, v12
	v_add_f16_e32 v61, v6, v11
	v_fmac_f16_e32 v73, 0x34f2, v9
	v_fmac_f16_e32 v39, 0x34f2, v9
	v_fma_f16 v40, -0.5, v8, v4
	v_sub_f16_e32 v8, v13, v72
	v_sub_f16_e32 v9, v6, v5
	;; [unrolled: 1-line block ×3, first 2 shown]
	v_sub_nc_u32_e32 v12, v37, v7
	v_add_f16_e32 v72, v4, v5
	v_fmamk_f16 v53, v8, 0x3b9c, v40
	v_fma_f16 v61, -0.5, v61, v4
	v_add_f16_e32 v13, v9, v13
	v_fmac_f16_e32 v40, 0xbb9c, v8
	v_sub_f16_e32 v9, v5, v6
	v_sub_f16_e32 v7, v10, v11
	v_add_f16_e32 v6, v6, v72
	v_add_nc_u32_e32 v72, 0x2ee, v12
	v_fmac_f16_e32 v53, 0xb8b4, v14
	v_fmamk_f16 v68, v14, 0xbb9c, v61
	v_mad_u64_u32 v[4:5], null, s2, v12, 0
	v_fmac_f16_e32 v40, 0x38b4, v14
	v_fmac_f16_e32 v61, 0x3b9c, v14
	v_add_f16_e32 v14, v9, v7
	v_add_f16_e32 v11, v6, v11
	v_mad_u64_u32 v[6:7], null, s2, v72, 0
	v_fmac_f16_e32 v68, 0xb8b4, v8
	v_fmac_f16_e32 v61, 0x38b4, v8
	;; [unrolled: 1-line block ×4, first 2 shown]
	v_add_f16_e32 v13, v11, v10
	v_fmac_f16_e32 v68, 0x34f2, v14
	v_mad_u64_u32 v[8:9], null, s3, v12, v[5:6]
	v_fmac_f16_e32 v61, 0x34f2, v14
	v_add_nc_u32_e32 v14, 0x5dc, v12
	v_pack_b32_f16 v64, v13, v64
	v_add_nc_u32_e32 v76, 0xbb8, v12
	v_pack_b32_f16 v40, v40, v38
	v_pack_b32_f16 v39, v61, v39
	v_mov_b32_e32 v5, v8
	v_lshlrev_b64 v[8:9], 2, v[24:25]
	v_add_nc_u32_e32 v24, 0x8ca, v12
	v_fmamk_f16 v49, v94, 0x3b9c, v52
	v_fmac_f16_e32 v52, 0xbb9c, v94
	v_lshlrev_b64 v[4:5], 2, v[4:5]
	v_pack_b32_f16 v48, v56, v48
	v_mad_u64_u32 v[10:11], null, s3, v72, v[7:8]
	v_add_nc_u32_e32 v72, 0x7d, v37
	v_add_co_u32 v2, vcc_lo, v2, v8
	v_add_co_ci_u32_e32 v3, vcc_lo, v3, v9, vcc_lo
	v_mad_u64_u32 v[8:9], null, s2, v14, 0
	v_mov_b32_e32 v7, v10
	v_mul_hi_u32 v13, 0x57619f1, v72
	v_mad_u64_u32 v[10:11], null, s2, v24, 0
	v_add_co_u32 v4, vcc_lo, v2, v4
	v_lshlrev_b64 v[6:7], 2, v[6:7]
	v_add_co_ci_u32_e32 v5, vcc_lo, v3, v5, vcc_lo
	v_lshrrev_b32_e32 v77, 4, v13
	v_mad_u64_u32 v[12:13], null, s3, v14, v[9:10]
	v_mov_b32_e32 v9, v11
	v_mad_u64_u32 v[13:14], null, s2, v76, 0
	v_mul_u32_u24_e32 v11, 0x2ee, v77
	v_add_co_u32 v6, vcc_lo, v2, v6
	v_mad_u64_u32 v[24:25], null, s3, v24, v[9:10]
	v_mov_b32_e32 v9, v12
	v_add_co_ci_u32_e32 v7, vcc_lo, v3, v7, vcc_lo
	v_sub_nc_u32_e32 v11, v72, v11
	global_store_dword v[4:5], v64, off
	global_store_dword v[6:7], v39, off
	v_lshlrev_b64 v[5:6], 2, v[8:9]
	v_mov_b32_e32 v4, v14
	v_mad_u32_u24 v61, 0xea6, v77, v11
	v_mov_b32_e32 v11, v24
	v_fmac_f16_e32 v52, 0xb8b4, v123
	v_fmac_f16_e32 v49, 0x38b4, v123
	v_mad_u64_u32 v[7:8], null, s3, v76, v[4:5]
	v_mad_u64_u32 v[8:9], null, s2, v61, 0
	v_add_nc_u32_e32 v38, 0x2ee, v61
	v_add_co_u32 v4, vcc_lo, v2, v5
	v_add_co_ci_u32_e32 v5, vcc_lo, v3, v6, vcc_lo
	v_mad_u64_u32 v[24:25], null, s2, v38, 0
	v_mov_b32_e32 v6, v9
	v_mov_b32_e32 v14, v7
	v_lshlrev_b64 v[10:11], 2, v[10:11]
	v_fmac_f16_e32 v52, 0x34f2, v124
	v_pack_b32_f16 v51, v55, v51
	v_mad_u64_u32 v[6:7], null, s3, v61, v[6:7]
	v_mov_b32_e32 v7, v25
	v_lshlrev_b64 v[12:13], 2, v[13:14]
	v_add_co_u32 v10, vcc_lo, v2, v10
	v_add_co_ci_u32_e32 v11, vcc_lo, v3, v11, vcc_lo
	v_mad_u64_u32 v[38:39], null, s3, v38, v[7:8]
	v_mov_b32_e32 v9, v6
	v_pack_b32_f16 v14, v53, v74
	v_add_co_u32 v12, vcc_lo, v2, v12
	global_store_dword v[4:5], v40, off
	global_store_dword v[10:11], v14, off
	v_mov_b32_e32 v25, v38
	v_lshlrev_b64 v[4:5], 2, v[8:9]
	v_add_co_ci_u32_e32 v13, vcc_lo, v3, v13, vcc_lo
	v_pack_b32_f16 v6, v68, v73
	v_add_nc_u32_e32 v14, 0x5dc, v61
	v_add_nc_u32_e32 v38, 0xfa, v37
	v_lshlrev_b64 v[8:9], 2, v[24:25]
	v_add_nc_u32_e32 v40, 0x8ca, v61
	global_store_dword v[12:13], v6, off
	v_mad_u64_u32 v[6:7], null, s2, v14, 0
	v_add_co_u32 v4, vcc_lo, v2, v4
	v_mul_hi_u32 v12, 0x57619f1, v38
	v_add_co_ci_u32_e32 v5, vcc_lo, v3, v5, vcc_lo
	v_mad_u64_u32 v[10:11], null, s2, v40, 0
	v_add_co_u32 v8, vcc_lo, v2, v8
	v_pack_b32_f16 v39, v75, v60
	v_lshrrev_b32_e32 v60, 4, v12
	v_add_nc_u32_e32 v53, 0xbb8, v61
	v_mad_u64_u32 v[12:13], null, s3, v14, v[7:8]
	v_mov_b32_e32 v7, v11
	v_mul_u32_u24_e32 v11, 0x2ee, v60
	v_mad_u64_u32 v[13:14], null, s2, v53, 0
	v_add_co_ci_u32_e32 v9, vcc_lo, v3, v9, vcc_lo
	v_mad_u64_u32 v[24:25], null, s3, v40, v[7:8]
	v_mov_b32_e32 v7, v12
	v_pack_b32_f16 v61, v66, v65
	v_sub_nc_u32_e32 v11, v38, v11
	global_store_dword v[4:5], v39, off
	global_store_dword v[8:9], v61, off
	v_lshlrev_b64 v[5:6], 2, v[6:7]
	v_mov_b32_e32 v4, v14
	v_mad_u32_u24 v40, 0xea6, v60, v11
	v_mov_b32_e32 v11, v24
	v_fmac_f16_e32 v49, 0x34f2, v124
	v_fmamk_f16 v34, v93, 0x3b9c, v36
	v_mad_u64_u32 v[7:8], null, s3, v53, v[4:5]
	v_mad_u64_u32 v[8:9], null, s2, v40, 0
	v_add_nc_u32_e32 v38, 0x2ee, v40
	v_add_co_u32 v4, vcc_lo, v2, v5
	v_add_co_ci_u32_e32 v5, vcc_lo, v3, v6, vcc_lo
	v_mad_u64_u32 v[24:25], null, s2, v38, 0
	v_mov_b32_e32 v6, v9
	v_mov_b32_e32 v14, v7
	v_lshlrev_b64 v[10:11], 2, v[10:11]
	v_pack_b32_f16 v53, v67, v58
	v_fmac_f16_e32 v36, 0xbb9c, v93
	v_mad_u64_u32 v[6:7], null, s3, v40, v[6:7]
	v_mov_b32_e32 v7, v25
	v_lshlrev_b64 v[12:13], 2, v[13:14]
	v_add_co_u32 v10, vcc_lo, v2, v10
	v_add_co_ci_u32_e32 v11, vcc_lo, v3, v11, vcc_lo
	v_mad_u64_u32 v[38:39], null, s3, v38, v[7:8]
	v_mov_b32_e32 v9, v6
	v_pack_b32_f16 v14, v63, v70
	v_add_co_u32 v12, vcc_lo, v2, v12
	global_store_dword v[4:5], v53, off
	global_store_dword v[10:11], v14, off
	v_mov_b32_e32 v25, v38
	v_lshlrev_b64 v[4:5], 2, v[8:9]
	v_add_co_ci_u32_e32 v13, vcc_lo, v3, v13, vcc_lo
	v_pack_b32_f16 v6, v69, v71
	v_add_nc_u32_e32 v14, 0x5dc, v40
	v_lshlrev_b64 v[8:9], 2, v[24:25]
	v_add_nc_u32_e32 v38, 0x8ca, v40
	v_add_co_u32 v4, vcc_lo, v2, v4
	global_store_dword v[12:13], v6, off
	v_mad_u64_u32 v[6:7], null, s2, v14, 0
	v_add_co_ci_u32_e32 v5, vcc_lo, v3, v5, vcc_lo
	v_mad_u64_u32 v[10:11], null, s2, v38, 0
	v_add_co_u32 v8, vcc_lo, v2, v8
	v_add_nc_u32_e32 v53, 0x177, v37
	v_add_nc_u32_e32 v40, 0xbb8, v40
	v_pack_b32_f16 v39, v62, v59
	v_mad_u64_u32 v[12:13], null, s3, v14, v[7:8]
	v_mul_hi_u32 v58, 0x57619f1, v53
	v_mov_b32_e32 v7, v11
	v_mad_u64_u32 v[13:14], null, s2, v40, 0
	v_add_co_ci_u32_e32 v9, vcc_lo, v3, v9, vcc_lo
	v_mad_u64_u32 v[24:25], null, s3, v38, v[7:8]
	v_mov_b32_e32 v7, v12
	v_pack_b32_f16 v11, v57, v52
	v_lshrrev_b32_e32 v25, 4, v58
	global_store_dword v[4:5], v39, off
	global_store_dword v[8:9], v11, off
	v_lshlrev_b64 v[5:6], 2, v[6:7]
	v_mov_b32_e32 v4, v14
	v_mul_u32_u24_e32 v9, 0x2ee, v25
	v_mov_b32_e32 v11, v24
	v_add_f16_e32 v100, v114, v115
	v_fmac_f16_e32 v36, 0xb8b4, v108
	v_mad_u64_u32 v[7:8], null, s3, v40, v[4:5]
	v_sub_nc_u32_e32 v8, v53, v9
	v_add_co_u32 v4, vcc_lo, v2, v5
	v_add_co_ci_u32_e32 v5, vcc_lo, v3, v6, vcc_lo
	v_mad_u32_u24 v40, 0xea6, v25, v8
	v_mov_b32_e32 v14, v7
	v_lshlrev_b64 v[8:9], 2, v[10:11]
	global_store_dword v[4:5], v48, off
	v_fmac_f16_e32 v36, 0x34f2, v109
	v_add_nc_u32_e32 v52, 0x2ee, v40
	v_mad_u64_u32 v[6:7], null, s2, v40, 0
	v_lshlrev_b64 v[10:11], 2, v[13:14]
	v_add_co_u32 v8, vcc_lo, v2, v8
	v_mad_u64_u32 v[12:13], null, s2, v52, 0
	v_add_nc_u32_e32 v53, 0x5dc, v40
	v_mad_u64_u32 v[24:25], null, s3, v40, v[7:8]
	v_add_co_ci_u32_e32 v9, vcc_lo, v3, v9, vcc_lo
	v_mad_u64_u32 v[38:39], null, s2, v53, 0
	v_mov_b32_e32 v7, v13
	global_store_dword v[8:9], v51, off
	v_add_co_u32 v10, vcc_lo, v2, v10
	v_add_co_ci_u32_e32 v11, vcc_lo, v3, v11, vcc_lo
	v_mad_u64_u32 v[13:14], null, s3, v52, v[7:8]
	v_add_nc_u32_e32 v14, 0x1f4, v37
	v_mov_b32_e32 v7, v24
	v_mov_b32_e32 v4, v39
	v_pack_b32_f16 v25, v54, v49
	v_fmac_f16_e32 v46, 0x34f2, v100
	v_mul_hi_u32 v9, 0x57619f1, v14
	v_lshlrev_b64 v[5:6], 2, v[6:7]
	v_add_f16_e32 v47, v112, v47
	global_store_dword v[10:11], v25, off
	v_add_nc_u32_e32 v25, 0x8ca, v40
	v_add_nc_u32_e32 v40, 0xbb8, v40
	v_pack_b32_f16 v36, v46, v36
	v_mad_u64_u32 v[7:8], null, s3, v53, v[4:5]
	v_lshrrev_b32_e32 v24, 4, v9
	v_lshlrev_b64 v[8:9], 2, v[12:13]
	v_add_co_u32 v4, vcc_lo, v2, v5
	v_add_co_ci_u32_e32 v5, vcc_lo, v3, v6, vcc_lo
	v_mul_u32_u24_e32 v12, 0x2ee, v24
	v_mov_b32_e32 v39, v7
	v_mad_u64_u32 v[6:7], null, s2, v25, 0
	v_mad_u64_u32 v[10:11], null, s2, v40, 0
	v_sub_nc_u32_e32 v14, v14, v12
	v_add_co_u32 v8, vcc_lo, v2, v8
	v_lshlrev_b64 v[12:13], 2, v[38:39]
	v_add_f16_e32 v47, v113, v47
	v_mad_u32_u24 v46, 0xea6, v24, v14
	v_mad_u64_u32 v[24:25], null, s3, v25, v[7:8]
	v_mov_b32_e32 v7, v11
	v_add_co_ci_u32_e32 v9, vcc_lo, v3, v9, vcc_lo
	v_fmac_f16_e32 v44, 0x34f2, v99
	v_add_co_u32 v11, vcc_lo, v2, v12
	v_mad_u64_u32 v[38:39], null, s2, v46, 0
	v_add_co_ci_u32_e32 v12, vcc_lo, v3, v13, vcc_lo
	v_mad_u64_u32 v[13:14], null, s3, v40, v[7:8]
	v_pack_b32_f16 v47, v50, v47
	v_mov_b32_e32 v7, v24
	v_pack_b32_f16 v14, v44, v33
	global_store_dword v[4:5], v47, off
	global_store_dword v[8:9], v36, off
	v_lshlrev_b64 v[5:6], 2, v[6:7]
	v_mov_b32_e32 v4, v39
	global_store_dword v[11:12], v14, off
	v_mov_b32_e32 v11, v13
	v_add_nc_u32_e32 v24, 0x2ee, v46
	v_add_nc_u32_e32 v36, 0x5dc, v46
	v_mad_u64_u32 v[7:8], null, s3, v46, v[4:5]
	v_lshlrev_b64 v[8:9], 2, v[10:11]
	v_mad_u64_u32 v[10:11], null, s2, v24, 0
	v_add_co_u32 v4, vcc_lo, v2, v5
	v_add_co_ci_u32_e32 v5, vcc_lo, v3, v6, vcc_lo
	v_mov_b32_e32 v39, v7
	v_add_co_u32 v6, vcc_lo, v2, v8
	v_mov_b32_e32 v8, v11
	v_mad_u64_u32 v[13:14], null, s2, v36, 0
	v_fmac_f16_e32 v34, 0x38b4, v108
	v_lshlrev_b64 v[11:12], 2, v[38:39]
	v_fmac_f16_e32 v45, 0x34f2, v99
	v_add_co_ci_u32_e32 v7, vcc_lo, v3, v9, vcc_lo
	v_mad_u64_u32 v[8:9], null, s3, v24, v[8:9]
	v_fmac_f16_e32 v34, 0x34f2, v109
	v_fmac_f16_e32 v42, 0x34f2, v100
	v_add_nc_u32_e32 v38, 0x8ca, v46
	v_mov_b32_e32 v9, v14
	v_pack_b32_f16 v40, v45, v41
	v_add_co_u32 v24, vcc_lo, v2, v11
	v_pack_b32_f16 v41, v42, v34
	v_mad_u64_u32 v[33:34], null, s2, v38, 0
	v_add_co_ci_u32_e32 v25, vcc_lo, v3, v12, vcc_lo
	v_pack_b32_f16 v12, v43, v35
	v_mad_u64_u32 v[35:36], null, s3, v36, v[9:10]
	v_mov_b32_e32 v11, v8
	global_store_dword v[4:5], v40, off
	global_store_dword v[6:7], v41, off
	;; [unrolled: 1-line block ×3, first 2 shown]
	v_add_nc_u32_e32 v24, 0x271, v37
	v_mov_b32_e32 v4, v34
	v_add_nc_u32_e32 v25, 0xbb8, v46
	v_lshlrev_b64 v[5:6], 2, v[10:11]
	v_mov_b32_e32 v14, v35
	v_mul_hi_u32 v12, 0x57619f1, v24
	v_pack_b32_f16 v26, v31, v26
	v_mad_u64_u32 v[10:11], null, s2, v25, 0
	v_mad_u64_u32 v[7:8], null, s3, v38, v[4:5]
	v_lshlrev_b64 v[8:9], 2, v[13:14]
	v_add_co_u32 v4, vcc_lo, v2, v5
	v_lshrrev_b32_e32 v31, 4, v12
	v_add_co_ci_u32_e32 v5, vcc_lo, v3, v6, vcc_lo
	v_mov_b32_e32 v34, v7
	v_add_co_u32 v6, vcc_lo, v2, v8
	v_mov_b32_e32 v8, v11
	v_mul_u32_u24_e32 v13, 0x2ee, v31
	v_add_co_ci_u32_e32 v7, vcc_lo, v3, v9, vcc_lo
	v_lshlrev_b64 v[11:12], 2, v[33:34]
	v_mad_u64_u32 v[8:9], null, s3, v25, v[8:9]
	v_sub_nc_u32_e32 v9, v24, v13
	v_pack_b32_f16 v22, v30, v22
	v_fmac_f16_e32 v1, 0xb8b4, v90
	v_add_co_u32 v13, vcc_lo, v2, v11
	v_mad_u32_u24 v24, 0xea6, v31, v9
	v_add_co_ci_u32_e32 v14, vcc_lo, v3, v12, vcc_lo
	v_pack_b32_f16 v12, v32, v28
	global_store_dword v[4:5], v26, off
	global_store_dword v[6:7], v22, off
	;; [unrolled: 1-line block ×3, first 2 shown]
	v_add_nc_u32_e32 v14, 0x2ee, v24
	v_mov_b32_e32 v11, v8
	v_mad_u64_u32 v[6:7], null, s2, v24, 0
	v_add_nc_u32_e32 v25, 0x5dc, v24
	v_mad_u64_u32 v[8:9], null, s2, v14, 0
	v_lshlrev_b64 v[4:5], 2, v[10:11]
	v_add_nc_u32_e32 v28, 0x8ca, v24
	v_mad_u64_u32 v[10:11], null, s2, v25, 0
	v_pack_b32_f16 v26, v29, v23
	v_fmac_f16_e32 v1, 0x34f2, v98
	v_mad_u64_u32 v[12:13], null, s3, v24, v[7:8]
	v_mad_u64_u32 v[22:23], null, s2, v28, 0
	;; [unrolled: 1-line block ×3, first 2 shown]
	v_add_co_u32 v4, vcc_lo, v2, v4
	v_mov_b32_e32 v9, v11
	v_add_co_ci_u32_e32 v5, vcc_lo, v3, v5, vcc_lo
	v_mov_b32_e32 v7, v12
	v_add_nc_u32_e32 v14, 0xbb8, v24
	v_mad_u64_u32 v[11:12], null, s3, v25, v[9:10]
	global_store_dword v[4:5], v26, off
	v_lshlrev_b64 v[4:5], 2, v[6:7]
	v_mov_b32_e32 v9, v13
	v_mov_b32_e32 v6, v23
	v_mad_u64_u32 v[12:13], null, s2, v14, 0
	v_lshlrev_b64 v[10:11], 2, v[10:11]
	v_lshlrev_b64 v[8:9], 2, v[8:9]
	v_mad_u64_u32 v[6:7], null, s3, v28, v[6:7]
	v_add_co_u32 v4, vcc_lo, v2, v4
	v_mov_b32_e32 v7, v13
	v_add_co_ci_u32_e32 v5, vcc_lo, v3, v5, vcc_lo
	v_fmac_f16_e32 v17, 0x34f2, v126
	v_mov_b32_e32 v23, v6
	v_mad_u64_u32 v[13:14], null, s3, v14, v[7:8]
	v_add_co_u32 v6, vcc_lo, v2, v8
	v_add_co_ci_u32_e32 v7, vcc_lo, v3, v9, vcc_lo
	v_lshlrev_b64 v[8:9], 2, v[22:23]
	v_fmac_f16_e32 v15, 0x38b4, v90
	v_pack_b32_f16 v14, v18, v1
	v_add_co_u32 v10, vcc_lo, v2, v10
	v_pack_b32_f16 v17, v17, v0
	v_lshlrev_b64 v[0:1], 2, v[12:13]
	v_fmac_f16_e32 v20, 0x34f2, v126
	v_add_co_ci_u32_e32 v11, vcc_lo, v3, v11, vcc_lo
	v_fmac_f16_e32 v15, 0x34f2, v98
	v_add_co_u32 v8, vcc_lo, v2, v8
	v_pack_b32_f16 v21, v27, v21
	v_add_co_ci_u32_e32 v9, vcc_lo, v3, v9, vcc_lo
	v_add_co_u32 v0, vcc_lo, v2, v0
	v_pack_b32_f16 v12, v20, v16
	v_add_co_ci_u32_e32 v1, vcc_lo, v3, v1, vcc_lo
	v_pack_b32_f16 v2, v19, v15
	global_store_dword v[4:5], v21, off
	global_store_dword v[6:7], v14, off
	;; [unrolled: 1-line block ×5, first 2 shown]
.LBB0_15:
	s_endpgm
	.section	.rodata,"a",@progbits
	.p2align	6, 0x0
	.amdhsa_kernel fft_rtc_fwd_len3750_factors_3_5_5_10_5_wgs_125_tpt_125_halfLds_half_op_CI_CI_sbrr_dirReg
		.amdhsa_group_segment_fixed_size 0
		.amdhsa_private_segment_fixed_size 0
		.amdhsa_kernarg_size 104
		.amdhsa_user_sgpr_count 6
		.amdhsa_user_sgpr_private_segment_buffer 1
		.amdhsa_user_sgpr_dispatch_ptr 0
		.amdhsa_user_sgpr_queue_ptr 0
		.amdhsa_user_sgpr_kernarg_segment_ptr 1
		.amdhsa_user_sgpr_dispatch_id 0
		.amdhsa_user_sgpr_flat_scratch_init 0
		.amdhsa_user_sgpr_private_segment_size 0
		.amdhsa_wavefront_size32 1
		.amdhsa_uses_dynamic_stack 0
		.amdhsa_system_sgpr_private_segment_wavefront_offset 0
		.amdhsa_system_sgpr_workgroup_id_x 1
		.amdhsa_system_sgpr_workgroup_id_y 0
		.amdhsa_system_sgpr_workgroup_id_z 0
		.amdhsa_system_sgpr_workgroup_info 0
		.amdhsa_system_vgpr_workitem_id 0
		.amdhsa_next_free_vgpr 136
		.amdhsa_next_free_sgpr 31
		.amdhsa_reserve_vcc 1
		.amdhsa_reserve_flat_scratch 0
		.amdhsa_float_round_mode_32 0
		.amdhsa_float_round_mode_16_64 0
		.amdhsa_float_denorm_mode_32 3
		.amdhsa_float_denorm_mode_16_64 3
		.amdhsa_dx10_clamp 1
		.amdhsa_ieee_mode 1
		.amdhsa_fp16_overflow 0
		.amdhsa_workgroup_processor_mode 1
		.amdhsa_memory_ordered 1
		.amdhsa_forward_progress 0
		.amdhsa_shared_vgpr_count 0
		.amdhsa_exception_fp_ieee_invalid_op 0
		.amdhsa_exception_fp_denorm_src 0
		.amdhsa_exception_fp_ieee_div_zero 0
		.amdhsa_exception_fp_ieee_overflow 0
		.amdhsa_exception_fp_ieee_underflow 0
		.amdhsa_exception_fp_ieee_inexact 0
		.amdhsa_exception_int_div_zero 0
	.end_amdhsa_kernel
	.text
.Lfunc_end0:
	.size	fft_rtc_fwd_len3750_factors_3_5_5_10_5_wgs_125_tpt_125_halfLds_half_op_CI_CI_sbrr_dirReg, .Lfunc_end0-fft_rtc_fwd_len3750_factors_3_5_5_10_5_wgs_125_tpt_125_halfLds_half_op_CI_CI_sbrr_dirReg
                                        ; -- End function
	.section	.AMDGPU.csdata,"",@progbits
; Kernel info:
; codeLenInByte = 23864
; NumSgprs: 33
; NumVgprs: 136
; ScratchSize: 0
; MemoryBound: 0
; FloatMode: 240
; IeeeMode: 1
; LDSByteSize: 0 bytes/workgroup (compile time only)
; SGPRBlocks: 4
; VGPRBlocks: 16
; NumSGPRsForWavesPerEU: 33
; NumVGPRsForWavesPerEU: 136
; Occupancy: 7
; WaveLimiterHint : 1
; COMPUTE_PGM_RSRC2:SCRATCH_EN: 0
; COMPUTE_PGM_RSRC2:USER_SGPR: 6
; COMPUTE_PGM_RSRC2:TRAP_HANDLER: 0
; COMPUTE_PGM_RSRC2:TGID_X_EN: 1
; COMPUTE_PGM_RSRC2:TGID_Y_EN: 0
; COMPUTE_PGM_RSRC2:TGID_Z_EN: 0
; COMPUTE_PGM_RSRC2:TIDIG_COMP_CNT: 0
	.text
	.p2alignl 6, 3214868480
	.fill 48, 4, 3214868480
	.type	__hip_cuid_deec20b61f48a245,@object ; @__hip_cuid_deec20b61f48a245
	.section	.bss,"aw",@nobits
	.globl	__hip_cuid_deec20b61f48a245
__hip_cuid_deec20b61f48a245:
	.byte	0                               ; 0x0
	.size	__hip_cuid_deec20b61f48a245, 1

	.ident	"AMD clang version 19.0.0git (https://github.com/RadeonOpenCompute/llvm-project roc-6.4.0 25133 c7fe45cf4b819c5991fe208aaa96edf142730f1d)"
	.section	".note.GNU-stack","",@progbits
	.addrsig
	.addrsig_sym __hip_cuid_deec20b61f48a245
	.amdgpu_metadata
---
amdhsa.kernels:
  - .args:
      - .actual_access:  read_only
        .address_space:  global
        .offset:         0
        .size:           8
        .value_kind:     global_buffer
      - .offset:         8
        .size:           8
        .value_kind:     by_value
      - .actual_access:  read_only
        .address_space:  global
        .offset:         16
        .size:           8
        .value_kind:     global_buffer
      - .actual_access:  read_only
        .address_space:  global
        .offset:         24
        .size:           8
        .value_kind:     global_buffer
      - .actual_access:  read_only
        .address_space:  global
        .offset:         32
        .size:           8
        .value_kind:     global_buffer
      - .offset:         40
        .size:           8
        .value_kind:     by_value
      - .actual_access:  read_only
        .address_space:  global
        .offset:         48
        .size:           8
        .value_kind:     global_buffer
      - .actual_access:  read_only
        .address_space:  global
        .offset:         56
        .size:           8
        .value_kind:     global_buffer
      - .offset:         64
        .size:           4
        .value_kind:     by_value
      - .actual_access:  read_only
        .address_space:  global
        .offset:         72
        .size:           8
        .value_kind:     global_buffer
      - .actual_access:  read_only
        .address_space:  global
        .offset:         80
        .size:           8
        .value_kind:     global_buffer
      - .actual_access:  read_only
        .address_space:  global
        .offset:         88
        .size:           8
        .value_kind:     global_buffer
      - .actual_access:  write_only
        .address_space:  global
        .offset:         96
        .size:           8
        .value_kind:     global_buffer
    .group_segment_fixed_size: 0
    .kernarg_segment_align: 8
    .kernarg_segment_size: 104
    .language:       OpenCL C
    .language_version:
      - 2
      - 0
    .max_flat_workgroup_size: 125
    .name:           fft_rtc_fwd_len3750_factors_3_5_5_10_5_wgs_125_tpt_125_halfLds_half_op_CI_CI_sbrr_dirReg
    .private_segment_fixed_size: 0
    .sgpr_count:     33
    .sgpr_spill_count: 0
    .symbol:         fft_rtc_fwd_len3750_factors_3_5_5_10_5_wgs_125_tpt_125_halfLds_half_op_CI_CI_sbrr_dirReg.kd
    .uniform_work_group_size: 1
    .uses_dynamic_stack: false
    .vgpr_count:     136
    .vgpr_spill_count: 0
    .wavefront_size: 32
    .workgroup_processor_mode: 1
amdhsa.target:   amdgcn-amd-amdhsa--gfx1030
amdhsa.version:
  - 1
  - 2
...

	.end_amdgpu_metadata
